;; amdgpu-corpus repo=ROCm/rocFFT kind=compiled arch=gfx906 opt=O3
	.text
	.amdgcn_target "amdgcn-amd-amdhsa--gfx906"
	.amdhsa_code_object_version 6
	.protected	bluestein_single_fwd_len8192_dim1_sp_op_CI_CI ; -- Begin function bluestein_single_fwd_len8192_dim1_sp_op_CI_CI
	.globl	bluestein_single_fwd_len8192_dim1_sp_op_CI_CI
	.p2align	8
	.type	bluestein_single_fwd_len8192_dim1_sp_op_CI_CI,@function
bluestein_single_fwd_len8192_dim1_sp_op_CI_CI: ; @bluestein_single_fwd_len8192_dim1_sp_op_CI_CI
; %bb.0:
	s_load_dwordx4 s[12:15], s[4:5], 0x28
	s_mov_b64 s[22:23], s[2:3]
	s_mov_b64 s[20:21], s[0:1]
	s_add_u32 s20, s20, s7
	s_mov_b32 s7, 0
	s_waitcnt lgkmcnt(0)
	v_mov_b32_e32 v1, s12
	v_mov_b32_e32 v2, s13
	v_cmp_lt_u64_e32 vcc, s[6:7], v[1:2]
	s_addc_u32 s21, s21, 0
	v_mov_b32_e32 v79, v0
	s_and_saveexec_b64 s[0:1], vcc
	s_cbranch_execz .LBB0_2
; %bb.1:
	s_load_dwordx4 s[0:3], s[4:5], 0x18
	s_load_dwordx4 s[8:11], s[4:5], 0x0
	v_mov_b32_e32 v90, s7
	v_mov_b32_e32 v89, s6
	;; [unrolled: 1-line block ×3, first 2 shown]
	s_waitcnt lgkmcnt(0)
	s_load_dwordx4 s[16:19], s[0:1], 0x0
	s_add_u32 s6, s8, 0x10000
	s_addc_u32 s7, s9, 0
	v_lshlrev_b32_e32 v98, 3, v79
	global_load_dwordx2 v[87:88], v98, s[8:9]
	s_waitcnt lgkmcnt(0)
	v_mad_u64_u32 v[1:2], s[0:1], s18, v89, 0
	v_mad_u64_u32 v[3:4], s[0:1], s16, v79, 0
	v_or_b32_e32 v119, 0xf000, v98
	v_or_b32_e32 v115, 0xe000, v98
	v_mad_u64_u32 v[5:6], s[0:1], s19, v89, v[2:3]
	v_or_b32_e32 v116, 0xb000, v98
	v_or_b32_e32 v111, 0xd000, v98
	v_mad_u64_u32 v[6:7], s[0:1], s17, v79, v[4:5]
	v_mov_b32_e32 v2, v5
	v_lshlrev_b64 v[1:2], 3, v[1:2]
	v_mov_b32_e32 v4, v6
	v_add_co_u32_e32 v5, vcc, s14, v1
	v_addc_co_u32_e32 v0, vcc, v0, v2, vcc
	v_lshlrev_b64 v[1:2], 3, v[3:4]
	s_lshl_b64 s[0:1], s[16:17], 12
	v_add_co_u32_e32 v3, vcc, v5, v1
	v_addc_co_u32_e32 v4, vcc, v0, v2, vcc
	global_load_dwordx2 v[5:6], v[3:4], off
	v_mov_b32_e32 v0, s1
	v_add_co_u32_e32 v3, vcc, s0, v3
	v_addc_co_u32_e32 v4, vcc, v4, v0, vcc
	v_or_b32_e32 v1, 0x200, v79
	v_add_co_u32_e32 v9, vcc, s0, v3
	v_lshlrev_b32_e32 v110, 3, v1
	v_or_b32_e32 v2, 0x400, v79
	v_addc_co_u32_e32 v10, vcc, v4, v0, vcc
	global_load_dwordx2 v[7:8], v[3:4], off
	global_load_dwordx2 v[11:12], v[9:10], off
	global_load_dwordx2 v[85:86], v110, s[8:9]
	global_load_dwordx2 v[37:38], v115, s[8:9]
	v_lshlrev_b32_e32 v114, 3, v2
	v_or_b32_e32 v3, 0x600, v79
	v_add_co_u32_e32 v9, vcc, s0, v9
	global_load_dwordx2 v[81:82], v114, s[8:9]
	global_load_dwordx2 v[39:40], v119, s[8:9]
	v_addc_co_u32_e32 v10, vcc, v10, v0, vcc
	v_lshlrev_b32_e32 v118, 3, v3
	global_load_dwordx2 v[13:14], v[9:10], off
	global_load_dwordx2 v[83:84], v118, s[8:9]
	v_or_b32_e32 v4, 0x4000, v98
	global_load_dwordx2 v[57:58], v4, s[8:9]
	v_or_b32_e32 v4, 0x5000, v98
	global_load_dwordx2 v[59:60], v4, s[8:9]
	v_add_co_u32_e32 v9, vcc, s0, v9
	v_addc_co_u32_e32 v10, vcc, v10, v0, vcc
	global_load_dwordx2 v[15:16], v[9:10], off
	v_add_co_u32_e32 v9, vcc, s0, v9
	v_addc_co_u32_e32 v10, vcc, v10, v0, vcc
	global_load_dwordx2 v[17:18], v[9:10], off
	;; [unrolled: 3-line block ×9, first 2 shown]
	v_add_co_u32_e32 v9, vcc, s0, v9
	v_addc_co_u32_e32 v10, vcc, v10, v0, vcc
	v_or_b32_e32 v4, 0x8000, v98
	global_load_dwordx2 v[33:34], v[9:10], off
	v_add_co_u32_e32 v9, vcc, s0, v9
	v_or_b32_e32 v117, 0x7000, v98
	global_load_dwordx2 v[49:50], v4, s[8:9]
	global_load_dwordx2 v[43:44], v111, s[8:9]
	v_or_b32_e32 v4, 0x9000, v98
	v_or_b32_e32 v112, 0xa000, v98
	global_load_dwordx2 v[47:48], v116, s[8:9]
	v_addc_co_u32_e32 v10, vcc, v10, v0, vcc
	v_or_b32_e32 v113, 0x6000, v98
	global_load_dwordx2 v[55:56], v117, s[8:9]
	global_load_dwordx2 v[45:46], v112, s[8:9]
	;; [unrolled: 1-line block ×3, first 2 shown]
	v_or_b32_e32 v4, 0xc000, v98
	global_load_dwordx2 v[35:36], v[9:10], off
	v_add_co_u32_e32 v9, vcc, s0, v9
	global_load_dwordx2 v[53:54], v113, s[8:9]
	global_load_dwordx2 v[41:42], v4, s[8:9]
	v_addc_co_u32_e32 v10, vcc, v10, v0, vcc
	s_waitcnt vmcnt(29)
	v_mul_f32_e32 v4, v6, v88
	v_mul_f32_e32 v0, v5, v88
	v_fmac_f32_e32 v4, v5, v87
	v_fma_f32 v5, v6, v87, -v0
	s_waitcnt vmcnt(26)
	v_mul_f32_e32 v6, v8, v86
	v_mul_f32_e32 v0, v7, v86
	v_fmac_f32_e32 v6, v7, v85
	v_fma_f32 v7, v8, v85, -v0
	s_waitcnt vmcnt(24)
	v_mul_f32_e32 v0, v11, v82
	ds_write2st64_b64 v98, v[4:5], v[6:7] offset1:8
	v_mul_f32_e32 v4, v12, v82
	v_fma_f32 v5, v12, v81, -v0
	s_waitcnt vmcnt(21)
	v_mul_f32_e32 v6, v14, v84
	v_mul_f32_e32 v0, v13, v84
	v_fmac_f32_e32 v4, v11, v81
	v_fmac_f32_e32 v6, v13, v83
	v_fma_f32 v7, v14, v83, -v0
	global_load_dwordx2 v[9:10], v[9:10], off
	s_load_dwordx4 s[0:3], s[2:3], 0x0
	ds_write2st64_b64 v98, v[4:5], v[6:7] offset0:16 offset1:24
	s_waitcnt vmcnt(21)
	buffer_store_dword v57, off, s[20:23], 0 offset:88 ; 4-byte Folded Spill
	s_nop 0
	buffer_store_dword v58, off, s[20:23], 0 offset:92 ; 4-byte Folded Spill
	s_waitcnt vmcnt(22)
	buffer_store_dword v59, off, s[20:23], 0 offset:80 ; 4-byte Folded Spill
	s_nop 0
	buffer_store_dword v60, off, s[20:23], 0 offset:84 ; 4-byte Folded Spill
	v_lshlrev_b32_e32 v103, 7, v79
	v_lshlrev_b32_e32 v1, 2, v1
	s_waitcnt vmcnt(23)
	v_mul_f32_e32 v0, v15, v58
	v_mul_f32_e32 v4, v16, v58
	v_fma_f32 v5, v16, v57, -v0
	s_waitcnt vmcnt(22)
	v_mul_f32_e32 v6, v18, v60
	v_mul_f32_e32 v0, v17, v60
	v_fmac_f32_e32 v4, v15, v57
	v_fmac_f32_e32 v6, v17, v59
	v_fma_f32 v7, v18, v59, -v0
	ds_write2st64_b64 v98, v[4:5], v[6:7] offset0:32 offset1:40
	s_waitcnt vmcnt(6)
	buffer_store_dword v53, off, s[20:23], 0 offset:72 ; 4-byte Folded Spill
	s_nop 0
	buffer_store_dword v54, off, s[20:23], 0 offset:76 ; 4-byte Folded Spill
	buffer_store_dword v55, off, s[20:23], 0 offset:64 ; 4-byte Folded Spill
	s_nop 0
	buffer_store_dword v56, off, s[20:23], 0 offset:68 ; 4-byte Folded Spill
	v_mul_f32_e32 v0, v19, v54
	v_mul_f32_e32 v4, v20, v54
	v_fma_f32 v5, v20, v53, -v0
	v_mul_f32_e32 v6, v22, v56
	v_mul_f32_e32 v0, v21, v56
	v_fmac_f32_e32 v4, v19, v53
	v_fmac_f32_e32 v6, v21, v55
	v_fma_f32 v7, v22, v55, -v0
	ds_write2st64_b64 v98, v[4:5], v[6:7] offset0:48 offset1:56
	buffer_store_dword v49, off, s[20:23], 0 offset:56 ; 4-byte Folded Spill
	s_nop 0
	buffer_store_dword v50, off, s[20:23], 0 offset:60 ; 4-byte Folded Spill
	buffer_store_dword v51, off, s[20:23], 0 offset:48 ; 4-byte Folded Spill
	s_nop 0
	buffer_store_dword v52, off, s[20:23], 0 offset:52 ; 4-byte Folded Spill
	v_mul_f32_e32 v0, v23, v50
	v_mul_f32_e32 v4, v24, v50
	v_fma_f32 v5, v24, v49, -v0
	v_mul_f32_e32 v6, v26, v52
	v_mul_f32_e32 v0, v25, v52
	v_fmac_f32_e32 v4, v23, v49
	v_fmac_f32_e32 v6, v25, v51
	v_fma_f32 v7, v26, v51, -v0
	ds_write2st64_b64 v98, v[4:5], v[6:7] offset0:64 offset1:72
	;; [unrolled: 15-line block ×3, first 2 shown]
	s_waitcnt vmcnt(17)
	buffer_store_dword v41, off, s[20:23], 0 offset:24 ; 4-byte Folded Spill
	s_nop 0
	buffer_store_dword v42, off, s[20:23], 0 offset:28 ; 4-byte Folded Spill
	buffer_store_dword v43, off, s[20:23], 0 offset:16 ; 4-byte Folded Spill
	s_nop 0
	buffer_store_dword v44, off, s[20:23], 0 offset:20 ; 4-byte Folded Spill
	v_mul_f32_e32 v0, v31, v42
	v_mul_f32_e32 v4, v32, v42
	v_fma_f32 v5, v32, v41, -v0
	v_mul_f32_e32 v6, v34, v44
	v_mul_f32_e32 v0, v33, v44
	v_fmac_f32_e32 v4, v31, v41
	v_fmac_f32_e32 v6, v33, v43
	v_fma_f32 v7, v34, v43, -v0
	ds_write2st64_b64 v98, v[4:5], v[6:7] offset0:96 offset1:104
	buffer_store_dword v37, off, s[20:23], 0 offset:8 ; 4-byte Folded Spill
	s_nop 0
	buffer_store_dword v38, off, s[20:23], 0 offset:12 ; 4-byte Folded Spill
	buffer_store_dword v39, off, s[20:23], 0 ; 4-byte Folded Spill
	s_nop 0
	buffer_store_dword v40, off, s[20:23], 0 offset:4 ; 4-byte Folded Spill
	v_mul_f32_e32 v0, v35, v38
	v_mul_f32_e32 v4, v36, v38
	v_fma_f32 v5, v36, v37, -v0
	s_waitcnt vmcnt(24)
	v_mul_f32_e32 v6, v10, v40
	v_mul_f32_e32 v0, v9, v40
	v_fmac_f32_e32 v4, v35, v37
	v_fmac_f32_e32 v6, v9, v39
	v_fma_f32 v7, v10, v39, -v0
	ds_write2st64_b64 v98, v[4:5], v[6:7] offset0:112 offset1:120
	s_waitcnt vmcnt(0) lgkmcnt(0)
	s_barrier
	ds_read2st64_b64 v[4:7], v98 offset1:8
	ds_read2st64_b64 v[8:11], v98 offset0:16 offset1:24
	ds_read2st64_b64 v[12:15], v98 offset0:32 offset1:40
	;; [unrolled: 1-line block ×7, first 2 shown]
	s_waitcnt lgkmcnt(4)
	v_sub_f32_e32 v0, v4, v16
	v_sub_f32_e32 v16, v5, v17
	s_waitcnt lgkmcnt(2)
	v_sub_f32_e32 v25, v9, v25
	s_waitcnt lgkmcnt(1)
	v_sub_f32_e32 v17, v12, v28
	v_sub_f32_e32 v28, v13, v29
	v_fma_f32 v12, v12, 2.0, -v17
	s_waitcnt lgkmcnt(0)
	v_sub_f32_e32 v29, v20, v32
	v_sub_f32_e32 v19, v7, v19
	;; [unrolled: 1-line block ×3, first 2 shown]
	v_add_f32_e32 v17, v16, v17
	v_fma_f32 v5, v5, 2.0, -v16
	v_fma_f32 v13, v13, 2.0, -v28
	v_sub_f32_e32 v24, v8, v24
	v_sub_f32_e32 v32, v21, v33
	v_fma_f32 v20, v20, 2.0, -v29
	v_sub_f32_e32 v18, v6, v18
	v_sub_f32_e32 v31, v15, v31
	;; [unrolled: 3-line block ×3, first 2 shown]
	v_sub_f32_e32 v34, v23, v35
	v_sub_f32_e32 v28, v0, v28
	v_fma_f32 v16, v16, 2.0, -v17
	v_add_f32_e32 v29, v25, v29
	v_add_f32_e32 v30, v19, v30
	v_fma_f32 v4, v4, 2.0, -v0
	v_fma_f32 v8, v8, 2.0, -v24
	;; [unrolled: 1-line block ×6, first 2 shown]
	v_sub_f32_e32 v26, v10, v26
	v_fma_f32 v11, v11, 2.0, -v27
	v_fma_f32 v22, v22, 2.0, -v33
	;; [unrolled: 1-line block ×4, first 2 shown]
	v_sub_f32_e32 v32, v24, v32
	v_fma_f32 v25, v25, 2.0, -v29
	v_sub_f32_e32 v31, v18, v31
	v_fma_f32 v19, v19, 2.0, -v30
	v_add_f32_e32 v33, v27, v33
	v_mov_b32_e32 v38, v16
	v_mov_b32_e32 v42, v17
	v_fma_f32 v6, v6, 2.0, -v18
	v_fma_f32 v10, v10, 2.0, -v26
	v_sub_f32_e32 v12, v4, v12
	v_sub_f32_e32 v13, v5, v13
	;; [unrolled: 1-line block ×4, first 2 shown]
	v_fma_f32 v24, v24, 2.0, -v32
	v_sub_f32_e32 v15, v7, v15
	v_fma_f32 v18, v18, 2.0, -v31
	v_sub_f32_e32 v23, v11, v23
	v_sub_f32_e32 v34, v26, v34
	v_fma_f32 v27, v27, 2.0, -v33
	v_mov_b32_e32 v37, v0
	v_fmac_f32_e32 v38, 0xbf3504f3, v25
	v_mov_b32_e32 v41, v28
	v_fmac_f32_e32 v42, 0x3f3504f3, v29
	v_mov_b32_e32 v43, v19
	v_fma_f32 v5, v5, 2.0, -v13
	v_fma_f32 v9, v9, 2.0, -v21
	v_sub_f32_e32 v14, v6, v14
	v_fma_f32 v7, v7, 2.0, -v15
	v_sub_f32_e32 v22, v10, v22
	v_fma_f32 v11, v11, 2.0, -v23
	v_fma_f32 v26, v26, 2.0, -v34
	v_fmac_f32_e32 v37, 0xbf3504f3, v24
	v_fmac_f32_e32 v38, 0x3f3504f3, v24
	v_sub_f32_e32 v39, v12, v21
	v_add_f32_e32 v40, v13, v20
	v_fmac_f32_e32 v41, 0x3f3504f3, v32
	v_fmac_f32_e32 v42, 0x3f3504f3, v32
	v_mov_b32_e32 v32, v18
	v_fmac_f32_e32 v43, 0xbf3504f3, v27
	v_fma_f32 v4, v4, 2.0, -v12
	v_fma_f32 v8, v8, 2.0, -v20
	;; [unrolled: 1-line block ×4, first 2 shown]
	v_sub_f32_e32 v36, v5, v9
	v_fmac_f32_e32 v37, 0xbf3504f3, v25
	v_fma_f32 v16, v16, 2.0, -v38
	v_fma_f32 v20, v12, 2.0, -v39
	;; [unrolled: 1-line block ×3, first 2 shown]
	v_fmac_f32_e32 v41, 0xbf3504f3, v29
	v_sub_f32_e32 v29, v7, v11
	v_fmac_f32_e32 v32, 0xbf3504f3, v26
	v_fmac_f32_e32 v43, 0x3f3504f3, v26
	v_sub_f32_e32 v44, v14, v23
	v_add_f32_e32 v45, v15, v22
	v_sub_f32_e32 v35, v4, v8
	v_fma_f32 v9, v5, 2.0, -v36
	v_fma_f32 v0, v0, 2.0, -v37
	;; [unrolled: 1-line block ×3, first 2 shown]
	v_sub_f32_e32 v28, v6, v10
	v_fma_f32 v5, v7, 2.0, -v29
	v_fmac_f32_e32 v32, 0xbf3504f3, v27
	v_fma_f32 v11, v19, 2.0, -v43
	v_fma_f32 v14, v14, 2.0, -v44
	;; [unrolled: 1-line block ×3, first 2 shown]
	v_mov_b32_e32 v46, v31
	v_mov_b32_e32 v47, v30
	;; [unrolled: 1-line block ×5, first 2 shown]
	v_fma_f32 v8, v4, 2.0, -v35
	v_fma_f32 v4, v6, 2.0, -v28
	;; [unrolled: 1-line block ×3, first 2 shown]
	v_fmac_f32_e32 v46, 0x3f3504f3, v34
	v_fmac_f32_e32 v47, 0x3f3504f3, v33
	v_mov_b32_e32 v6, v0
	v_fmac_f32_e32 v7, 0xbf6c835e, v11
	v_fmac_f32_e32 v12, 0xbf3504f3, v14
	;; [unrolled: 1-line block ×3, first 2 shown]
	v_fma_f32 v25, v17, 2.0, -v42
	v_fmac_f32_e32 v46, 0xbf3504f3, v33
	v_fmac_f32_e32 v47, 0x3f3504f3, v34
	;; [unrolled: 1-line block ×6, first 2 shown]
	v_fma_f32 v18, v31, 2.0, -v46
	v_fma_f32 v19, v30, 2.0, -v47
	v_fmac_f32_e32 v6, 0xbec3ef15, v11
	v_fma_f32 v11, v16, 2.0, -v7
	v_fma_f32 v16, v20, 2.0, -v12
	;; [unrolled: 1-line block ×3, first 2 shown]
	v_mov_b32_e32 v14, v24
	v_mov_b32_e32 v15, v25
	v_sub_f32_e32 v20, v35, v29
	v_add_f32_e32 v21, v36, v28
	v_mov_b32_e32 v22, v37
	v_mov_b32_e32 v23, v38
	;; [unrolled: 1-line block ×6, first 2 shown]
	v_sub_f32_e32 v4, v8, v4
	v_sub_f32_e32 v5, v9, v5
	v_fmac_f32_e32 v14, 0xbec3ef15, v18
	v_fmac_f32_e32 v15, 0xbec3ef15, v19
	;; [unrolled: 1-line block ×8, first 2 shown]
	v_fma_f32 v8, v8, 2.0, -v4
	v_fma_f32 v9, v9, 2.0, -v5
	;; [unrolled: 1-line block ×3, first 2 shown]
	v_fmac_f32_e32 v14, 0xbf6c835e, v19
	v_fmac_f32_e32 v15, 0x3f6c835e, v18
	;; [unrolled: 1-line block ×8, first 2 shown]
	v_and_b32_e32 v0, 15, v79
	v_fma_f32 v18, v24, 2.0, -v14
	v_fma_f32 v19, v25, 2.0, -v15
	;; [unrolled: 1-line block ×10, first 2 shown]
	s_barrier
	ds_write_b128 v103, v[8:11]
	ds_write_b128 v103, v[16:19] offset:16
	ds_write_b128 v103, v[24:27] offset:32
	;; [unrolled: 1-line block ×7, first 2 shown]
	v_mad_u64_u32 v[4:5], s[8:9], v0, 24, s[10:11]
	s_waitcnt lgkmcnt(0)
	s_barrier
	global_load_dwordx4 v[29:32], v[4:5], off
	global_load_dwordx2 v[92:93], v[4:5], off offset:16
	ds_read2st64_b64 v[4:7], v98 offset1:8
	ds_read2st64_b64 v[8:11], v98 offset0:32 offset1:40
	ds_read2st64_b64 v[12:15], v98 offset0:64 offset1:72
	;; [unrolled: 1-line block ×7, first 2 shown]
	s_movk_i32 s8, 0x7c0
	s_waitcnt vmcnt(0) lgkmcnt(0)
	s_barrier
	v_mov_b32_e32 v42, s11
	v_mov_b32_e32 v41, s10
	v_mul_f32_e32 v28, v9, v30
	v_fma_f32 v28, v8, v29, -v28
	v_mul_f32_e32 v8, v8, v30
	v_fmac_f32_e32 v8, v9, v29
	v_mul_f32_e32 v9, v13, v32
	v_fma_f32 v9, v12, v31, -v9
	v_mul_f32_e32 v12, v12, v32
	v_fmac_f32_e32 v12, v13, v31
	;; [unrolled: 4-line block ×3, first 2 shown]
	v_mul_f32_e32 v17, v11, v30
	v_fma_f32 v17, v10, v29, -v17
	v_mul_f32_e32 v43, v10, v30
	v_mul_f32_e32 v10, v15, v32
	v_fma_f32 v44, v14, v31, -v10
	v_mul_f32_e32 v14, v14, v32
	v_mul_f32_e32 v10, v19, v93
	v_fmac_f32_e32 v14, v15, v31
	v_fma_f32 v15, v18, v92, -v10
	v_mul_f32_e32 v10, v25, v30
	v_fma_f32 v45, v24, v29, -v10
	v_mul_f32_e32 v24, v24, v30
	v_mul_f32_e32 v10, v34, v32
	v_fmac_f32_e32 v24, v25, v29
	v_fma_f32 v25, v33, v31, -v10
	v_mul_f32_e32 v33, v33, v32
	v_mul_f32_e32 v10, v38, v93
	v_fmac_f32_e32 v33, v34, v31
	v_fma_f32 v34, v37, v92, -v10
	v_mul_f32_e32 v37, v37, v93
	v_mul_f32_e32 v10, v27, v30
	;; [unrolled: 1-line block ×3, first 2 shown]
	v_fmac_f32_e32 v37, v38, v92
	v_fma_f32 v38, v26, v29, -v10
	v_mul_f32_e32 v10, v36, v32
	v_fmac_f32_e32 v43, v11, v29
	v_fmac_f32_e32 v18, v19, v92
	v_mul_f32_e32 v46, v26, v30
	v_fma_f32 v47, v35, v31, -v10
	v_mul_f32_e32 v35, v35, v32
	v_mul_f32_e32 v10, v40, v93
	v_sub_f32_e32 v19, v4, v9
	v_sub_f32_e32 v26, v5, v12
	;; [unrolled: 1-line block ×4, first 2 shown]
	v_fmac_f32_e32 v35, v36, v31
	v_fma_f32 v36, v39, v92, -v10
	v_fma_f32 v9, v4, 2.0, -v19
	v_fma_f32 v10, v5, 2.0, -v26
	;; [unrolled: 1-line block ×4, first 2 shown]
	v_add_f32_e32 v11, v26, v11
	v_sub_f32_e32 v4, v9, v4
	v_sub_f32_e32 v5, v10, v5
	v_fma_f32 v13, v26, 2.0, -v11
	v_sub_f32_e32 v26, v7, v14
	v_sub_f32_e32 v18, v43, v18
	v_fma_f32 v8, v9, 2.0, -v4
	v_fma_f32 v9, v10, 2.0, -v5
	v_sub_f32_e32 v10, v19, v12
	v_fma_f32 v16, v7, 2.0, -v26
	v_fma_f32 v7, v43, 2.0, -v18
	v_fmac_f32_e32 v46, v27, v29
	v_mul_f32_e32 v39, v39, v93
	v_fma_f32 v12, v19, 2.0, -v10
	v_sub_f32_e32 v19, v6, v44
	v_sub_f32_e32 v27, v17, v15
	;; [unrolled: 1-line block ×3, first 2 shown]
	v_fmac_f32_e32 v39, v40, v92
	v_fma_f32 v14, v6, 2.0, -v19
	v_fma_f32 v6, v17, 2.0, -v27
	;; [unrolled: 1-line block ×3, first 2 shown]
	v_sub_f32_e32 v16, v19, v18
	v_add_f32_e32 v17, v26, v27
	v_sub_f32_e32 v28, v20, v25
	v_sub_f32_e32 v40, v21, v33
	;; [unrolled: 1-line block ×4, first 2 shown]
	v_fma_f32 v18, v19, 2.0, -v16
	v_fma_f32 v19, v26, 2.0, -v17
	;; [unrolled: 1-line block ×6, first 2 shown]
	v_add_f32_e32 v27, v40, v27
	v_sub_f32_e32 v20, v25, v20
	v_sub_f32_e32 v21, v26, v21
	v_fma_f32 v34, v40, 2.0, -v27
	v_sub_f32_e32 v40, v23, v35
	v_sub_f32_e32 v39, v46, v39
	v_fma_f32 v24, v25, 2.0, -v20
	v_fma_f32 v25, v26, 2.0, -v21
	v_sub_f32_e32 v26, v28, v33
	v_fma_f32 v37, v23, 2.0, -v40
	v_fma_f32 v23, v46, 2.0, -v39
	;; [unrolled: 1-line block ×3, first 2 shown]
	v_sub_f32_e32 v28, v22, v47
	v_sub_f32_e32 v23, v37, v23
	;; [unrolled: 1-line block ×3, first 2 shown]
	v_fma_f32 v36, v37, 2.0, -v23
	v_sub_f32_e32 v37, v28, v39
	v_fma_f32 v35, v22, 2.0, -v28
	v_fma_f32 v39, v28, 2.0, -v37
	v_lshlrev_b32_e32 v28, 2, v79
	v_and_or_b32 v28, v28, s8, v0
	s_movk_i32 s8, 0xfc0
	v_lshlrev_b32_e32 v104, 3, v28
	v_and_or_b32 v1, v1, s8, v0
	ds_write2_b64 v104, v[8:9], v[12:13] offset1:16
	ds_write2_b64 v104, v[4:5], v[10:11] offset0:32 offset1:48
	v_lshlrev_b32_e32 v10, 3, v1
	v_lshlrev_b32_e32 v1, 2, v2
	s_movk_i32 s8, 0x17c0
	v_sub_f32_e32 v6, v14, v6
	v_and_or_b32 v1, v1, s8, v0
	v_fma_f32 v14, v14, 2.0, -v6
	v_lshlrev_b32_e32 v1, 3, v1
	v_fma_f32 v22, v38, 2.0, -v43
	ds_write2_b64 v10, v[14:15], v[18:19] offset1:16
	ds_write2_b64 v10, v[6:7], v[16:17] offset0:32 offset1:48
	buffer_store_dword v1, off, s[20:23], 0 offset:96 ; 4-byte Folded Spill
	ds_write2_b64 v1, v[24:25], v[33:34] offset1:16
	ds_write2_b64 v1, v[20:21], v[26:27] offset0:32 offset1:48
	v_lshlrev_b32_e32 v1, 2, v3
	s_movk_i32 s8, 0x1fc0
	v_sub_f32_e32 v22, v35, v22
	v_add_f32_e32 v38, v40, v43
	v_and_or_b32 v0, v1, s8, v0
	v_fma_f32 v35, v35, 2.0, -v22
	v_fma_f32 v40, v40, 2.0, -v38
	v_lshlrev_b32_e32 v0, 3, v0
	v_and_b32_e32 v33, 63, v79
	s_movk_i32 s8, 0x78
	buffer_store_dword v0, off, s[20:23], 0 offset:100 ; 4-byte Folded Spill
	ds_write2_b64 v0, v[35:36], v[39:40] offset1:16
	ds_write2_b64 v0, v[22:23], v[37:38] offset0:32 offset1:48
	v_mad_u64_u32 v[34:35], s[8:9], v33, s8, v[41:42]
	s_waitcnt vmcnt(0) lgkmcnt(0)
	s_barrier
	global_load_dwordx4 v[25:28], v[34:35], off offset:384
	global_load_dwordx4 v[13:16], v[34:35], off offset:400
	;; [unrolled: 1-line block ×7, first 2 shown]
	global_load_dwordx2 v[90:91], v[34:35], off offset:496
	ds_read2st64_b64 v[34:37], v98 offset0:16 offset1:24
	ds_read2st64_b64 v[38:41], v98 offset0:32 offset1:40
	;; [unrolled: 1-line block ×6, first 2 shown]
	s_movk_i32 s8, 0x1c00
	s_waitcnt vmcnt(7) lgkmcnt(5)
	v_mul_f32_e32 v0, v35, v28
	v_fma_f32 v0, v34, v27, -v0
	v_mul_f32_e32 v1, v34, v28
	s_waitcnt vmcnt(6) lgkmcnt(4)
	v_mul_f32_e32 v4, v39, v16
	s_waitcnt vmcnt(4) lgkmcnt(2)
	v_mul_f32_e32 v34, v47, v68
	v_fma_f32 v4, v38, v15, -v4
	v_mul_f32_e32 v5, v38, v16
	v_mul_f32_e32 v6, v41, v62
	v_fma_f32 v38, v46, v67, -v34
	s_waitcnt vmcnt(3)
	v_mul_f32_e32 v34, v49, v22
	v_fma_f32 v6, v40, v61, -v6
	v_mul_f32_e32 v7, v40, v62
	v_mul_f32_e32 v8, v43, v64
	v_fma_f32 v40, v48, v21, -v34
	s_waitcnt lgkmcnt(1)
	v_mul_f32_e32 v34, v51, v24
	v_fma_f32 v8, v42, v63, -v8
	v_mul_f32_e32 v9, v42, v64
	v_mul_f32_e32 v11, v45, v66
	v_fma_f32 v42, v50, v23, -v34
	s_waitcnt vmcnt(2)
	v_mul_f32_e32 v34, v53, v18
	v_fma_f32 v11, v44, v65, -v11
	v_mul_f32_e32 v12, v44, v66
	v_fma_f32 v44, v52, v17, -v34
	s_waitcnt lgkmcnt(0)
	v_mul_f32_e32 v34, v95, v20
	v_mul_f32_e32 v2, v37, v14
	;; [unrolled: 1-line block ×3, first 2 shown]
	v_fmac_f32_e32 v5, v39, v15
	v_mul_f32_e32 v39, v46, v68
	v_fma_f32 v46, v94, v19, -v34
	s_waitcnt vmcnt(1)
	v_mul_f32_e32 v34, v97, v58
	v_fmac_f32_e32 v1, v35, v27
	v_fma_f32 v2, v36, v13, -v2
	v_fmac_f32_e32 v3, v37, v13
	v_fmac_f32_e32 v7, v41, v61
	v_mul_f32_e32 v41, v48, v22
	v_fma_f32 v48, v96, v57, -v34
	ds_read2st64_b64 v[34:37], v98 offset0:112 offset1:120
	v_fmac_f32_e32 v9, v43, v63
	v_fmac_f32_e32 v12, v45, v65
	v_mul_f32_e32 v43, v50, v24
	v_mul_f32_e32 v45, v52, v18
	s_waitcnt lgkmcnt(0)
	v_mul_f32_e32 v50, v35, v60
	v_fmac_f32_e32 v43, v51, v23
	v_fmac_f32_e32 v45, v53, v17
	v_fma_f32 v50, v34, v59, -v50
	v_mul_f32_e32 v51, v34, v60
	s_waitcnt vmcnt(0)
	v_mul_f32_e32 v34, v37, v91
	v_mul_f32_e32 v53, v36, v91
	v_fmac_f32_e32 v51, v35, v59
	v_fma_f32 v52, v36, v90, -v34
	v_fmac_f32_e32 v53, v37, v90
	ds_read2st64_b64 v[34:37], v98 offset1:8
	v_fmac_f32_e32 v39, v47, v67
	v_mul_f32_e32 v47, v94, v20
	v_fmac_f32_e32 v47, v95, v19
	v_sub_f32_e32 v42, v0, v42
	s_waitcnt lgkmcnt(0)
	v_mul_f32_e32 v54, v37, v26
	v_fma_f32 v54, v36, v25, -v54
	v_mul_f32_e32 v36, v36, v26
	v_fmac_f32_e32 v36, v37, v25
	v_sub_f32_e32 v37, v34, v38
	v_sub_f32_e32 v38, v35, v39
	v_fma_f32 v39, v34, 2.0, -v37
	v_fma_f32 v55, v35, 2.0, -v38
	v_sub_f32_e32 v34, v4, v46
	v_sub_f32_e32 v35, v5, v47
	;; [unrolled: 1-line block ×6, first 2 shown]
	v_add_f32_e32 v51, v38, v34
	v_fma_f32 v8, v8, 2.0, -v46
	v_fma_f32 v9, v9, 2.0, -v47
	;; [unrolled: 1-line block ×4, first 2 shown]
	v_sub_f32_e32 v47, v42, v47
	v_add_f32_e32 v46, v43, v46
	v_fmac_f32_e32 v41, v49, v21
	v_mul_f32_e32 v49, v96, v58
	v_fma_f32 v4, v4, 2.0, -v34
	v_fma_f32 v5, v5, 2.0, -v35
	;; [unrolled: 1-line block ×4, first 2 shown]
	v_mov_b32_e32 v34, v56
	v_mov_b32_e32 v35, v94
	v_fmac_f32_e32 v49, v97, v57
	v_fmac_f32_e32 v34, 0xbf3504f3, v37
	;; [unrolled: 1-line block ×3, first 2 shown]
	v_fma_f32 v0, v0, 2.0, -v42
	v_fmac_f32_e32 v34, 0xbf3504f3, v38
	v_fmac_f32_e32 v35, 0x3f3504f3, v37
	v_sub_f32_e32 v37, v54, v40
	v_sub_f32_e32 v38, v36, v41
	;; [unrolled: 1-line block ×4, first 2 shown]
	v_fma_f32 v1, v1, 2.0, -v43
	v_sub_f32_e32 v43, v2, v44
	v_sub_f32_e32 v44, v3, v45
	;; [unrolled: 1-line block ×5, first 2 shown]
	v_add_f32_e32 v52, v38, v41
	v_fma_f32 v6, v6, 2.0, -v41
	v_fma_f32 v7, v7, 2.0, -v42
	;; [unrolled: 1-line block ×6, first 2 shown]
	v_sub_f32_e32 v48, v43, v48
	v_add_f32_e32 v45, v44, v45
	v_fma_f32 v40, v54, 2.0, -v37
	v_fma_f32 v36, v36, 2.0, -v38
	;; [unrolled: 1-line block ×6, first 2 shown]
	v_mov_b32_e32 v54, v41
	v_mov_b32_e32 v95, v42
	v_fmac_f32_e32 v54, 0xbf3504f3, v37
	v_fmac_f32_e32 v95, 0xbf3504f3, v38
	v_sub_f32_e32 v4, v39, v4
	v_sub_f32_e32 v5, v55, v5
	;; [unrolled: 1-line block ×8, first 2 shown]
	v_fmac_f32_e32 v54, 0xbf3504f3, v38
	v_fmac_f32_e32 v95, 0x3f3504f3, v37
	v_fma_f32 v37, v39, 2.0, -v4
	v_fma_f32 v38, v55, 2.0, -v5
	;; [unrolled: 1-line block ×8, first 2 shown]
	v_sub_f32_e32 v0, v37, v0
	v_sub_f32_e32 v1, v38, v1
	;; [unrolled: 1-line block ×4, first 2 shown]
	v_fma_f32 v40, v37, 2.0, -v0
	v_fma_f32 v43, v38, 2.0, -v1
	;; [unrolled: 1-line block ×4, first 2 shown]
	v_sub_f32_e32 v36, v40, v37
	v_sub_f32_e32 v37, v43, v38
	v_fma_f32 v39, v43, 2.0, -v37
	v_fma_f32 v43, v56, 2.0, -v34
	v_fma_f32 v44, v94, 2.0, -v35
	v_fma_f32 v38, v40, 2.0, -v36
	v_fma_f32 v53, v41, 2.0, -v54
	v_fma_f32 v42, v42, 2.0, -v95
	v_mov_b32_e32 v40, v43
	v_mov_b32_e32 v41, v44
	v_fmac_f32_e32 v40, 0xbf6c835e, v53
	v_fmac_f32_e32 v41, 0xbf6c835e, v42
	;; [unrolled: 1-line block ×4, first 2 shown]
	v_mov_b32_e32 v56, v50
	v_mov_b32_e32 v105, v51
	v_fma_f32 v42, v43, 2.0, -v40
	v_fma_f32 v43, v44, 2.0, -v41
	v_lshlrev_b32_e32 v44, 4, v79
	v_fmac_f32_e32 v56, 0x3f3504f3, v47
	v_fmac_f32_e32 v105, 0x3f3504f3, v46
	v_mov_b32_e32 v106, v49
	v_mov_b32_e32 v107, v52
	v_and_or_b32 v33, v44, s8, v33
	v_sub_f32_e32 v9, v4, v9
	v_add_f32_e32 v8, v5, v8
	v_fmac_f32_e32 v56, 0xbf3504f3, v46
	v_fmac_f32_e32 v105, 0x3f3504f3, v47
	;; [unrolled: 1-line block ×4, first 2 shown]
	v_lshlrev_b32_e32 v102, 3, v33
	v_fma_f32 v4, v4, 2.0, -v9
	v_fma_f32 v5, v5, 2.0, -v8
	;; [unrolled: 1-line block ×4, first 2 shown]
	v_sub_f32_e32 v12, v6, v12
	v_add_f32_e32 v11, v7, v11
	v_fmac_f32_e32 v106, 0xbf3504f3, v45
	v_fmac_f32_e32 v107, 0x3f3504f3, v48
	v_mov_b32_e32 v53, v35
	s_barrier
	ds_write2st64_b64 v102, v[38:39], v[42:43] offset1:1
	v_fma_f32 v6, v6, 2.0, -v12
	v_fma_f32 v7, v7, 2.0, -v11
	;; [unrolled: 1-line block ×4, first 2 shown]
	v_mov_b32_e32 v38, v4
	v_mov_b32_e32 v39, v5
	;; [unrolled: 1-line block ×5, first 2 shown]
	v_fmac_f32_e32 v53, 0x3ec3ef15, v95
	v_fmac_f32_e32 v38, 0xbf3504f3, v6
	v_fmac_f32_e32 v39, 0xbf3504f3, v7
	v_fmac_f32_e32 v44, 0xbec3ef15, v46
	v_fmac_f32_e32 v45, 0xbec3ef15, v48
	v_fmac_f32_e32 v52, 0x3ec3ef15, v54
	v_fmac_f32_e32 v53, 0x3f6c835e, v54
	v_mov_b32_e32 v54, v9
	v_mov_b32_e32 v55, v8
	v_mov_b32_e32 v96, v56
	v_mov_b32_e32 v97, v105
	v_fmac_f32_e32 v38, 0xbf3504f3, v7
	v_fmac_f32_e32 v39, 0x3f3504f3, v6
	;; [unrolled: 1-line block ×4, first 2 shown]
	v_sub_f32_e32 v48, v0, v3
	v_fmac_f32_e32 v54, 0x3f3504f3, v12
	v_fmac_f32_e32 v55, 0x3f3504f3, v11
	v_fmac_f32_e32 v96, 0x3f6c835e, v106
	v_fmac_f32_e32 v97, 0x3f6c835e, v107
	v_fma_f32 v42, v4, 2.0, -v38
	v_fma_f32 v43, v5, 2.0, -v39
	;; [unrolled: 1-line block ×4, first 2 shown]
	v_add_f32_e32 v49, v1, v2
	v_fma_f32 v50, v0, 2.0, -v48
	v_fmac_f32_e32 v52, 0xbf6c835e, v95
	v_fmac_f32_e32 v54, 0xbf3504f3, v11
	;; [unrolled: 1-line block ×5, first 2 shown]
	v_fma_f32 v51, v1, 2.0, -v49
	v_fma_f32 v33, v34, 2.0, -v52
	;; [unrolled: 1-line block ×7, first 2 shown]
	ds_write2st64_b64 v102, v[42:43], v[46:47] offset0:2 offset1:3
	ds_write2st64_b64 v102, v[50:51], v[33:34] offset0:4 offset1:5
	;; [unrolled: 1-line block ×7, first 2 shown]
	v_mad_u64_u32 v[49:50], s[8:9], v79, 56, s[10:11]
	s_movk_i32 s8, 0x1000
	s_waitcnt lgkmcnt(0)
	v_add_co_u32_e32 v33, vcc, s8, v49
	v_addc_co_u32_e32 v34, vcc, 0, v50, vcc
	s_mov_b32 s8, 0x8000
	v_add_co_u32_e32 v37, vcc, s8, v49
	v_addc_co_u32_e32 v38, vcc, 0, v50, vcc
	s_barrier
	global_load_dwordx4 v[33:36], v[33:34], off offset:3968
	s_movk_i32 s8, 0x1f80
	global_load_dwordx4 v[37:40], v[37:38], off offset:3968
	ds_read2st64_b64 v[41:44], v98 offset0:16 offset1:24
	ds_read2st64_b64 v[45:48], v98 offset0:32 offset1:40
	v_add_co_u32_e32 v53, vcc, s8, v49
	v_addc_co_u32_e32 v54, vcc, 0, v50, vcc
	s_mov_b32 s8, 0x8f80
	v_add_co_u32_e32 v124, vcc, s8, v49
	v_addc_co_u32_e32 v125, vcc, 0, v50, vcc
	global_load_dwordx2 v[96:97], v[53:54], off offset:48
	ds_read2st64_b64 v[49:52], v98 offset0:48 offset1:56
	global_load_dwordx2 v[94:95], v[124:125], off offset:48
	ds_read2st64_b64 v[120:123], v98 offset0:80 offset1:88
	s_waitcnt vmcnt(3) lgkmcnt(3)
	v_mul_f32_e32 v0, v42, v34
	v_mul_f32_e32 v1, v41, v34
	s_waitcnt lgkmcnt(2)
	v_mul_f32_e32 v2, v46, v36
	v_mul_f32_e32 v3, v45, v36
	s_waitcnt vmcnt(2)
	v_mul_f32_e32 v4, v44, v38
	v_mul_f32_e32 v5, v43, v38
	;; [unrolled: 1-line block ×4, first 2 shown]
	v_fma_f32 v0, v41, v33, -v0
	v_fmac_f32_e32 v1, v42, v33
	v_fma_f32 v2, v45, v35, -v2
	v_fmac_f32_e32 v3, v46, v35
	;; [unrolled: 2-line block ×4, first 2 shown]
	global_load_dwordx4 v[45:48], v[53:54], off offset:16
	global_load_dwordx4 v[41:44], v[124:125], off offset:16
	s_waitcnt vmcnt(1) lgkmcnt(1)
	v_mul_f32_e32 v8, v50, v46
	v_mul_f32_e32 v9, v49, v46
	s_waitcnt vmcnt(0)
	v_mul_f32_e32 v11, v52, v42
	v_mul_f32_e32 v12, v51, v42
	v_fma_f32 v8, v49, v45, -v8
	v_fmac_f32_e32 v9, v50, v45
	v_fma_f32 v11, v51, v41, -v11
	v_fmac_f32_e32 v12, v52, v41
	ds_read2st64_b64 v[49:52], v98 offset0:64 offset1:72
	s_waitcnt lgkmcnt(0)
	v_mul_f32_e32 v55, v50, v48
	v_fma_f32 v105, v49, v47, -v55
	global_load_dwordx4 v[53:56], v[53:54], off offset:32
	v_mul_f32_e32 v106, v49, v48
	v_mul_f32_e32 v49, v52, v44
	v_fma_f32 v107, v51, v43, -v49
	v_mul_f32_e32 v108, v51, v44
	v_fmac_f32_e32 v106, v50, v47
	v_fmac_f32_e32 v108, v52, v43
	s_waitcnt vmcnt(0)
	v_mul_f32_e32 v49, v121, v54
	v_fma_f32 v126, v120, v53, -v49
	global_load_dwordx4 v[49:52], v[124:125], off offset:32
	v_mul_f32_e32 v127, v120, v54
	v_fmac_f32_e32 v127, v121, v53
	v_sub_f32_e32 v75, v0, v126
	v_sub_f32_e32 v78, v1, v127
	v_fma_f32 v0, v0, 2.0, -v75
	v_fma_f32 v1, v1, 2.0, -v78
	s_waitcnt vmcnt(0)
	v_mul_f32_e32 v120, v123, v50
	v_mul_f32_e32 v125, v122, v50
	v_fma_f32 v124, v122, v49, -v120
	v_fmac_f32_e32 v125, v123, v49
	ds_read2st64_b64 v[120:123], v98 offset0:96 offset1:104
	s_waitcnt lgkmcnt(0)
	v_mul_f32_e32 v109, v121, v56
	v_mul_f32_e32 v99, v120, v56
	v_mul_f32_e32 v101, v123, v52
	v_mul_f32_e32 v100, v122, v52
	v_fma_f32 v109, v120, v55, -v109
	v_fmac_f32_e32 v99, v121, v55
	v_fma_f32 v101, v122, v51, -v101
	v_fmac_f32_e32 v100, v123, v51
	ds_read2st64_b64 v[120:123], v98 offset0:112 offset1:120
	v_sub_f32_e32 v109, v2, v109
	v_sub_f32_e32 v99, v3, v99
	v_fma_f32 v2, v2, 2.0, -v109
	v_fma_f32 v3, v3, 2.0, -v99
	s_waitcnt lgkmcnt(0)
	v_mul_f32_e32 v70, v121, v97
	v_mul_f32_e32 v69, v120, v97
	v_mul_f32_e32 v72, v123, v95
	v_mul_f32_e32 v71, v122, v95
	v_fma_f32 v70, v120, v96, -v70
	v_fmac_f32_e32 v69, v121, v96
	v_fma_f32 v72, v122, v94, -v72
	v_fmac_f32_e32 v71, v123, v94
	ds_read2st64_b64 v[120:123], v98 offset1:8
	v_sub_f32_e32 v70, v8, v70
	v_sub_f32_e32 v69, v9, v69
	v_fma_f32 v8, v8, 2.0, -v70
	v_fma_f32 v9, v9, 2.0, -v69
	s_waitcnt lgkmcnt(0)
	v_sub_f32_e32 v74, v120, v105
	v_sub_f32_e32 v105, v121, v106
	v_sub_f32_e32 v106, v122, v107
	v_sub_f32_e32 v107, v123, v108
	v_fma_f32 v108, v120, 2.0, -v74
	v_fma_f32 v120, v121, 2.0, -v105
	v_sub_f32_e32 v77, v108, v2
	v_sub_f32_e32 v80, v120, v3
	;; [unrolled: 1-line block ×4, first 2 shown]
	v_fma_f32 v2, v108, 2.0, -v77
	v_fma_f32 v3, v120, 2.0, -v80
	;; [unrolled: 1-line block ×4, first 2 shown]
	v_sub_f32_e32 v120, v2, v0
	v_sub_f32_e32 v121, v3, v1
	;; [unrolled: 1-line block ×4, first 2 shown]
	v_fma_f32 v73, v122, 2.0, -v106
	v_fma_f32 v76, v123, 2.0, -v107
	;; [unrolled: 1-line block ×6, first 2 shown]
	v_sub_f32_e32 v6, v4, v124
	v_sub_f32_e32 v7, v5, v125
	;; [unrolled: 1-line block ×4, first 2 shown]
	v_fma_f32 v4, v4, 2.0, -v6
	v_fma_f32 v5, v5, 2.0, -v7
	;; [unrolled: 1-line block ×4, first 2 shown]
	v_sub_f32_e32 v100, v73, v2
	v_sub_f32_e32 v101, v76, v3
	;; [unrolled: 1-line block ×4, first 2 shown]
	v_fma_f32 v2, v73, 2.0, -v100
	v_fma_f32 v3, v76, 2.0, -v101
	;; [unrolled: 1-line block ×4, first 2 shown]
	v_sub_f32_e32 v124, v2, v4
	v_sub_f32_e32 v125, v3, v5
	;; [unrolled: 1-line block ×3, first 2 shown]
	v_add_f32_e32 v76, v105, v109
	v_fma_f32 v126, v2, 2.0, -v124
	v_fma_f32 v127, v3, 2.0, -v125
	;; [unrolled: 1-line block ×4, first 2 shown]
	v_sub_f32_e32 v69, v75, v69
	v_add_f32_e32 v70, v78, v70
	ds_write2st64_b64 v98, v[122:123], v[126:127] offset1:8
	v_fma_f32 v4, v75, 2.0, -v69
	v_fma_f32 v5, v78, 2.0, -v70
	v_mov_b32_e32 v122, v2
	v_mov_b32_e32 v123, v3
	v_fmac_f32_e32 v122, 0xbf3504f3, v4
	v_fmac_f32_e32 v123, 0xbf3504f3, v5
	v_sub_f32_e32 v74, v106, v1
	v_add_f32_e32 v75, v107, v0
	v_fmac_f32_e32 v122, 0xbf3504f3, v5
	v_fmac_f32_e32 v123, 0x3f3504f3, v4
	v_fma_f32 v0, v106, 2.0, -v74
	v_fma_f32 v1, v107, 2.0, -v75
	v_sub_f32_e32 v71, v6, v71
	v_add_f32_e32 v72, v7, v72
	v_fma_f32 v126, v2, 2.0, -v122
	v_fma_f32 v127, v3, 2.0, -v123
	v_fma_f32 v4, v6, 2.0, -v71
	v_fma_f32 v5, v7, 2.0, -v72
	v_mov_b32_e32 v2, v0
	v_mov_b32_e32 v3, v1
	v_fmac_f32_e32 v2, 0xbf3504f3, v4
	v_fmac_f32_e32 v3, 0xbf3504f3, v5
	;; [unrolled: 1-line block ×4, first 2 shown]
	v_fma_f32 v105, v0, 2.0, -v2
	v_fma_f32 v106, v1, 2.0, -v3
	ds_write2st64_b64 v98, v[126:127], v[105:106] offset0:16 offset1:24
	v_sub_f32_e32 v105, v77, v9
	v_add_f32_e32 v106, v80, v8
	v_sub_f32_e32 v4, v100, v12
	v_add_f32_e32 v5, v101, v11
	v_fma_f32 v126, v77, 2.0, -v105
	v_fma_f32 v127, v80, 2.0, -v106
	v_fma_f32 v107, v100, 2.0, -v4
	v_fma_f32 v108, v101, 2.0, -v5
	ds_write2st64_b64 v98, v[126:127], v[107:108] offset0:32 offset1:40
	v_mov_b32_e32 v107, v73
	v_mov_b32_e32 v108, v76
	;; [unrolled: 1-line block ×4, first 2 shown]
	v_fmac_f32_e32 v107, 0x3f3504f3, v69
	v_fmac_f32_e32 v108, 0x3f3504f3, v70
	;; [unrolled: 1-line block ×8, first 2 shown]
	v_fma_f32 v126, v73, 2.0, -v107
	v_fma_f32 v127, v76, 2.0, -v108
	;; [unrolled: 1-line block ×4, first 2 shown]
	ds_write2st64_b64 v98, v[126:127], v[6:7] offset0:48 offset1:56
	ds_write2st64_b64 v98, v[120:121], v[124:125] offset0:64 offset1:72
	;; [unrolled: 1-line block ×5, first 2 shown]
	s_waitcnt lgkmcnt(0)
	s_barrier
	global_load_dwordx2 v[0:1], v110, s[6:7]
	global_load_dwordx2 v[2:3], v114, s[6:7]
	;; [unrolled: 1-line block ×4, first 2 shown]
	ds_read2st64_b64 v[120:123], v98 offset1:8
	s_waitcnt vmcnt(0) lgkmcnt(0)
	v_mul_f32_e32 v8, v121, v7
	v_mul_f32_e32 v106, v120, v7
	v_fma_f32 v105, v120, v6, -v8
	v_fmac_f32_e32 v106, v121, v6
	v_mul_f32_e32 v6, v123, v1
	v_mul_f32_e32 v7, v122, v1
	v_fma_f32 v6, v122, v0, -v6
	v_fmac_f32_e32 v7, v123, v0
	ds_read2st64_b64 v[120:123], v98 offset0:16 offset1:24
	v_or_b32_e32 v8, 0x5000, v98
	s_waitcnt lgkmcnt(0)
	v_mul_f32_e32 v0, v121, v3
	v_mul_f32_e32 v1, v120, v3
	v_fma_f32 v0, v120, v2, -v0
	v_fmac_f32_e32 v1, v121, v2
	v_mul_f32_e32 v2, v123, v5
	v_mul_f32_e32 v3, v122, v5
	v_fma_f32 v2, v122, v4, -v2
	v_fmac_f32_e32 v3, v123, v4
	v_or_b32_e32 v4, 0x4000, v98
	global_load_dwordx2 v[4:5], v4, s[6:7]
	s_nop 0
	global_load_dwordx2 v[107:108], v8, s[6:7]
	global_load_dwordx2 v[109:110], v113, s[6:7]
	s_nop 0
	global_load_dwordx2 v[113:114], v117, s[6:7]
	ds_read2st64_b64 v[120:123], v98 offset0:32 offset1:40
	s_waitcnt vmcnt(3) lgkmcnt(0)
	v_mul_f32_e32 v8, v121, v5
	v_mul_f32_e32 v118, v120, v5
	v_fma_f32 v117, v120, v4, -v8
	v_fmac_f32_e32 v118, v121, v4
	s_waitcnt vmcnt(2)
	v_mul_f32_e32 v4, v123, v108
	v_mul_f32_e32 v5, v122, v108
	v_fma_f32 v4, v122, v107, -v4
	v_fmac_f32_e32 v5, v123, v107
	ds_read2st64_b64 v[120:123], v98 offset0:48 offset1:56
	s_waitcnt vmcnt(1) lgkmcnt(0)
	v_mul_f32_e32 v8, v121, v110
	v_fma_f32 v107, v120, v109, -v8
	v_mul_f32_e32 v108, v120, v110
	s_waitcnt vmcnt(0)
	v_mul_f32_e32 v8, v123, v114
	v_fmac_f32_e32 v108, v121, v109
	v_fma_f32 v109, v122, v113, -v8
	v_mul_f32_e32 v110, v122, v114
	v_or_b32_e32 v8, 0x8000, v98
	v_fmac_f32_e32 v110, v123, v113
	global_load_dwordx2 v[113:114], v8, s[6:7]
	v_or_b32_e32 v8, 0x9000, v98
	global_load_dwordx2 v[124:125], v8, s[6:7]
	global_load_dwordx2 v[126:127], v112, s[6:7]
	s_nop 0
	global_load_dwordx2 v[8:9], v116, s[6:7]
	ds_read2st64_b64 v[120:123], v98 offset0:64 offset1:72
	ds_write2st64_b64 v98, v[105:106], v[6:7] offset1:8
	ds_write2st64_b64 v98, v[0:1], v[2:3] offset0:16 offset1:24
	ds_write2st64_b64 v98, v[117:118], v[4:5] offset0:32 offset1:40
	v_or_b32_e32 v0, 0xc000, v98
	global_load_dwordx2 v[0:1], v0, s[6:7]
	s_nop 0
	global_load_dwordx2 v[2:3], v111, s[6:7]
	ds_write2st64_b64 v98, v[107:108], v[109:110] offset0:48 offset1:56
	global_load_dwordx2 v[4:5], v115, s[6:7]
	global_load_dwordx2 v[6:7], v119, s[6:7]
	ds_read2st64_b64 v[105:108], v98 offset0:80 offset1:88
	s_waitcnt vmcnt(7) lgkmcnt(5)
	v_mul_f32_e32 v11, v121, v114
	v_mul_f32_e32 v12, v120, v114
	v_fma_f32 v11, v120, v113, -v11
	v_fmac_f32_e32 v12, v121, v113
	s_waitcnt vmcnt(6)
	v_mul_f32_e32 v69, v123, v125
	v_mul_f32_e32 v113, v122, v125
	v_fma_f32 v112, v122, v124, -v69
	v_fmac_f32_e32 v113, v123, v124
	ds_write2st64_b64 v98, v[11:12], v[112:113] offset0:64 offset1:72
	s_waitcnt vmcnt(5) lgkmcnt(1)
	v_mul_f32_e32 v11, v106, v127
	v_mul_f32_e32 v12, v105, v127
	s_waitcnt vmcnt(4)
	v_mul_f32_e32 v69, v108, v9
	v_mul_f32_e32 v110, v107, v9
	v_fma_f32 v11, v105, v126, -v11
	v_fmac_f32_e32 v12, v106, v126
	v_fma_f32 v109, v107, v8, -v69
	v_fmac_f32_e32 v110, v108, v8
	ds_read2st64_b64 v[105:108], v98 offset0:96 offset1:104
	ds_write2st64_b64 v98, v[11:12], v[109:110] offset0:80 offset1:88
	ds_read2st64_b64 v[109:112], v98 offset0:112 offset1:120
	s_waitcnt vmcnt(3) lgkmcnt(2)
	v_mul_f32_e32 v8, v106, v1
	v_mul_f32_e32 v9, v105, v1
	v_fma_f32 v8, v105, v0, -v8
	v_fmac_f32_e32 v9, v106, v0
	s_waitcnt vmcnt(2)
	v_mul_f32_e32 v0, v108, v3
	v_mul_f32_e32 v1, v107, v3
	v_fma_f32 v0, v107, v2, -v0
	v_fmac_f32_e32 v1, v108, v2
	ds_write2st64_b64 v98, v[8:9], v[0:1] offset0:96 offset1:104
	s_waitcnt vmcnt(1) lgkmcnt(1)
	v_mul_f32_e32 v0, v110, v5
	v_mul_f32_e32 v1, v109, v5
	s_waitcnt vmcnt(0)
	v_mul_f32_e32 v2, v112, v7
	v_mul_f32_e32 v3, v111, v7
	v_fma_f32 v0, v109, v4, -v0
	v_fmac_f32_e32 v1, v110, v4
	v_fma_f32 v2, v111, v6, -v2
	v_fmac_f32_e32 v3, v112, v6
	ds_write2st64_b64 v98, v[0:1], v[2:3] offset0:112 offset1:120
	s_waitcnt lgkmcnt(0)
	s_barrier
	ds_read2st64_b64 v[105:108], v98 offset1:8
	ds_read2st64_b64 v[109:112], v98 offset0:64 offset1:72
	ds_read2st64_b64 v[113:116], v98 offset0:32 offset1:40
	s_waitcnt lgkmcnt(1)
	v_sub_f32_e32 v0, v105, v109
	v_sub_f32_e32 v1, v106, v110
	;; [unrolled: 1-line block ×4, first 2 shown]
	v_fma_f32 v2, v105, 2.0, -v0
	v_fma_f32 v3, v106, 2.0, -v1
	;; [unrolled: 1-line block ×4, first 2 shown]
	ds_read2st64_b64 v[105:108], v98 offset0:96 offset1:104
	s_waitcnt lgkmcnt(0)
	v_sub_f32_e32 v8, v113, v105
	v_sub_f32_e32 v9, v114, v106
	;; [unrolled: 1-line block ×4, first 2 shown]
	ds_read2st64_b64 v[105:108], v98 offset0:16 offset1:24
	ds_read2st64_b64 v[109:112], v98 offset0:80 offset1:88
	v_fma_f32 v69, v113, 2.0, -v8
	v_fma_f32 v70, v114, 2.0, -v9
	v_add_f32_e32 v9, v0, v9
	v_sub_f32_e32 v8, v1, v8
	s_waitcnt lgkmcnt(0)
	v_sub_f32_e32 v73, v105, v109
	v_sub_f32_e32 v74, v106, v110
	;; [unrolled: 1-line block ×4, first 2 shown]
	v_fma_f32 v77, v105, 2.0, -v73
	v_fma_f32 v78, v106, 2.0, -v74
	;; [unrolled: 1-line block ×4, first 2 shown]
	ds_read2st64_b64 v[105:108], v98 offset0:48 offset1:56
	ds_read2st64_b64 v[109:112], v98 offset0:112 offset1:120
	v_fma_f32 v0, v0, 2.0, -v9
	v_fma_f32 v1, v1, 2.0, -v8
	v_mov_b32_e32 v119, v0
	v_mov_b32_e32 v120, v1
	s_waitcnt lgkmcnt(0)
	v_sub_f32_e32 v100, v105, v109
	v_sub_f32_e32 v101, v106, v110
	v_fma_f32 v105, v105, 2.0, -v100
	v_fma_f32 v106, v106, 2.0, -v101
	v_add_f32_e32 v101, v73, v101
	v_sub_f32_e32 v100, v74, v100
	v_fma_f32 v73, v73, 2.0, -v101
	v_fma_f32 v74, v74, 2.0, -v100
	;; [unrolled: 1-line block ×4, first 2 shown]
	v_sub_f32_e32 v109, v107, v111
	v_sub_f32_e32 v110, v108, v112
	v_fmac_f32_e32 v119, 0xbf3504f3, v73
	v_fmac_f32_e32 v120, 0xbf3504f3, v74
	v_add_f32_e32 v12, v4, v12
	v_sub_f32_e32 v11, v5, v11
	v_fmac_f32_e32 v119, 0x3f3504f3, v74
	v_fmac_f32_e32 v120, 0xbf3504f3, v73
	v_fma_f32 v4, v4, 2.0, -v12
	v_fma_f32 v5, v5, 2.0, -v11
	v_add_f32_e32 v73, v75, v110
	v_sub_f32_e32 v74, v76, v109
	v_fma_f32 v75, v75, 2.0, -v73
	v_fma_f32 v76, v76, 2.0, -v74
	v_mov_b32_e32 v121, v4
	v_mov_b32_e32 v122, v5
	v_fma_f32 v107, v107, 2.0, -v109
	v_fma_f32 v108, v108, 2.0, -v110
	v_fmac_f32_e32 v121, 0xbf3504f3, v75
	v_fmac_f32_e32 v122, 0xbf3504f3, v76
	;; [unrolled: 1-line block ×4, first 2 shown]
	v_sub_f32_e32 v69, v2, v69
	v_sub_f32_e32 v70, v3, v70
	v_sub_f32_e32 v75, v77, v105
	v_sub_f32_e32 v76, v78, v106
	v_sub_f32_e32 v71, v6, v71
	v_sub_f32_e32 v72, v7, v72
	v_sub_f32_e32 v113, v80, v107
	v_sub_f32_e32 v114, v99, v108
	v_fma_f32 v2, v2, 2.0, -v69
	v_fma_f32 v3, v3, 2.0, -v70
	v_fma_f32 v77, v77, 2.0, -v75
	v_fma_f32 v78, v78, 2.0, -v76
	v_fma_f32 v6, v6, 2.0, -v71
	v_fma_f32 v7, v7, 2.0, -v72
	v_fma_f32 v80, v80, 2.0, -v113
	v_fma_f32 v99, v99, 2.0, -v114
	v_sub_f32_e32 v77, v2, v77
	v_sub_f32_e32 v78, v3, v78
	;; [unrolled: 1-line block ×4, first 2 shown]
	v_fma_f32 v2, v2, 2.0, -v77
	v_fma_f32 v3, v3, 2.0, -v78
	v_fma_f32 v6, v6, 2.0, -v80
	v_fma_f32 v7, v7, 2.0, -v99
	v_sub_f32_e32 v105, v2, v6
	v_sub_f32_e32 v106, v3, v7
	v_fma_f32 v0, v0, 2.0, -v119
	v_fma_f32 v1, v1, 2.0, -v120
	;; [unrolled: 1-line block ×6, first 2 shown]
	v_mov_b32_e32 v107, v0
	v_mov_b32_e32 v108, v1
	v_fmac_f32_e32 v107, 0xbf6c835e, v2
	v_fmac_f32_e32 v108, 0xbf6c835e, v3
	;; [unrolled: 1-line block ×4, first 2 shown]
	v_add_f32_e32 v4, v69, v76
	v_sub_f32_e32 v5, v70, v75
	v_fma_f32 v111, v0, 2.0, -v107
	v_fma_f32 v112, v1, 2.0, -v108
	;; [unrolled: 1-line block ×4, first 2 shown]
	v_add_f32_e32 v69, v71, v114
	v_sub_f32_e32 v70, v72, v113
	s_barrier
	ds_write_b128 v103, v[109:112]
	v_mov_b32_e32 v0, v9
	v_mov_b32_e32 v1, v8
	v_fma_f32 v71, v71, 2.0, -v69
	v_fma_f32 v72, v72, 2.0, -v70
	v_mov_b32_e32 v109, v6
	v_mov_b32_e32 v110, v7
	v_fmac_f32_e32 v0, 0x3f3504f3, v101
	v_fmac_f32_e32 v1, 0x3f3504f3, v100
	v_mov_b32_e32 v2, v12
	v_mov_b32_e32 v3, v11
	v_fmac_f32_e32 v109, 0xbf3504f3, v71
	v_fmac_f32_e32 v110, 0xbf3504f3, v72
	;; [unrolled: 1-line block ×10, first 2 shown]
	v_fma_f32 v113, v6, 2.0, -v109
	v_fma_f32 v114, v7, 2.0, -v110
	;; [unrolled: 1-line block ×6, first 2 shown]
	v_mov_b32_e32 v111, v6
	v_mov_b32_e32 v112, v7
	v_fmac_f32_e32 v111, 0xbec3ef15, v8
	v_fmac_f32_e32 v112, 0xbec3ef15, v9
	v_fmac_f32_e32 v111, 0x3f6c835e, v9
	v_fmac_f32_e32 v112, 0xbf6c835e, v8
	v_fma_f32 v115, v6, 2.0, -v111
	v_fma_f32 v116, v7, 2.0, -v112
	ds_write_b128 v103, v[113:116] offset:16
	v_mov_b32_e32 v115, v119
	v_mov_b32_e32 v116, v120
	v_fmac_f32_e32 v115, 0x3ec3ef15, v121
	v_fmac_f32_e32 v116, 0x3ec3ef15, v122
	v_add_f32_e32 v113, v77, v99
	v_sub_f32_e32 v114, v78, v80
	v_fmac_f32_e32 v115, 0x3f6c835e, v122
	v_fmac_f32_e32 v116, 0xbf6c835e, v121
	v_fma_f32 v117, v77, 2.0, -v113
	v_fma_f32 v118, v78, 2.0, -v114
	;; [unrolled: 1-line block ×4, first 2 shown]
	ds_write_b128 v103, v[117:120] offset:32
	v_mov_b32_e32 v117, v4
	v_mov_b32_e32 v118, v5
	;; [unrolled: 1-line block ×4, first 2 shown]
	v_fmac_f32_e32 v117, 0x3f3504f3, v69
	v_fmac_f32_e32 v118, 0x3f3504f3, v70
	;; [unrolled: 1-line block ×8, first 2 shown]
	v_fma_f32 v121, v4, 2.0, -v117
	v_fma_f32 v122, v5, 2.0, -v118
	;; [unrolled: 1-line block ×4, first 2 shown]
	ds_write_b128 v103, v[121:124] offset:48
	ds_write_b128 v103, v[105:108] offset:64
	;; [unrolled: 1-line block ×5, first 2 shown]
	s_waitcnt lgkmcnt(0)
	s_barrier
	ds_read2st64_b64 v[105:108], v98 offset0:32 offset1:40
	ds_read2st64_b64 v[109:112], v98 offset0:64 offset1:72
	;; [unrolled: 1-line block ×3, first 2 shown]
	s_waitcnt lgkmcnt(2)
	v_mul_f32_e32 v0, v30, v106
	v_mul_f32_e32 v1, v30, v105
	;; [unrolled: 1-line block ×4, first 2 shown]
	v_fmac_f32_e32 v0, v29, v105
	v_fma_f32 v1, v29, v106, -v1
	v_fmac_f32_e32 v8, v29, v107
	v_fma_f32 v9, v29, v108, -v4
	ds_read2st64_b64 v[105:108], v98 offset0:80 offset1:88
	s_waitcnt lgkmcnt(2)
	v_mul_f32_e32 v4, v32, v111
	v_fma_f32 v12, v31, v112, -v4
	s_waitcnt lgkmcnt(1)
	v_mul_f32_e32 v4, v30, v113
	v_fma_f32 v70, v29, v114, -v4
	v_mul_f32_e32 v4, v30, v115
	v_fma_f32 v72, v29, v116, -v4
	s_waitcnt lgkmcnt(0)
	v_mul_f32_e32 v4, v32, v105
	v_mul_f32_e32 v2, v32, v110
	;; [unrolled: 1-line block ×7, first 2 shown]
	v_fma_f32 v74, v31, v106, -v4
	v_mul_f32_e32 v75, v32, v108
	v_mul_f32_e32 v4, v32, v107
	v_fmac_f32_e32 v2, v31, v109
	v_fma_f32 v3, v31, v110, -v3
	v_fmac_f32_e32 v11, v31, v111
	v_fmac_f32_e32 v69, v29, v113
	;; [unrolled: 1-line block ×5, first 2 shown]
	v_fma_f32 v76, v31, v108, -v4
	ds_read2st64_b64 v[29:32], v98 offset0:96 offset1:104
	ds_read2st64_b64 v[105:108], v98 offset0:16 offset1:24
	s_waitcnt lgkmcnt(1)
	v_mul_f32_e32 v4, v93, v30
	v_mul_f32_e32 v5, v93, v29
	;; [unrolled: 1-line block ×4, first 2 shown]
	v_fmac_f32_e32 v4, v92, v29
	v_fma_f32 v5, v92, v30, -v5
	v_fmac_f32_e32 v77, v92, v31
	v_fma_f32 v78, v92, v32, -v6
	ds_read2st64_b64 v[29:32], v98 offset0:112 offset1:120
	s_waitcnt lgkmcnt(1)
	v_sub_f32_e32 v73, v105, v73
	v_sub_f32_e32 v74, v106, v74
	;; [unrolled: 1-line block ×4, first 2 shown]
	s_waitcnt lgkmcnt(0)
	v_mul_f32_e32 v6, v93, v29
	v_mul_f32_e32 v80, v93, v30
	v_fma_f32 v99, v92, v30, -v6
	v_mul_f32_e32 v100, v93, v32
	v_mul_f32_e32 v6, v93, v31
	v_fmac_f32_e32 v80, v92, v29
	v_fmac_f32_e32 v100, v92, v31
	v_fma_f32 v101, v92, v32, -v6
	ds_read2st64_b64 v[29:32], v98 offset1:8
	v_sub_f32_e32 v92, v0, v4
	v_sub_f32_e32 v4, v1, v5
	v_fma_f32 v0, v0, 2.0, -v92
	v_fma_f32 v1, v1, 2.0, -v4
	s_waitcnt lgkmcnt(0)
	v_sub_f32_e32 v6, v29, v2
	v_sub_f32_e32 v7, v30, v3
	v_fma_f32 v2, v29, 2.0, -v6
	v_fma_f32 v3, v30, 2.0, -v7
	v_mad_u64_u32 v[29:30], s[6:7], s2, v89, 0
	v_sub_f32_e32 v0, v2, v0
	v_sub_f32_e32 v1, v3, v1
	v_add_f32_e32 v4, v6, v4
	v_sub_f32_e32 v5, v7, v92
	v_fma_f32 v2, v2, 2.0, -v0
	v_fma_f32 v3, v3, 2.0, -v1
	;; [unrolled: 1-line block ×4, first 2 shown]
	s_barrier
	ds_write2_b64 v104, v[2:3], v[6:7] offset1:16
	ds_write2_b64 v104, v[0:1], v[4:5] offset0:32 offset1:48
	v_sub_f32_e32 v6, v31, v11
	v_sub_f32_e32 v7, v32, v12
	v_mov_b32_e32 v0, v30
	v_sub_f32_e32 v5, v8, v77
	v_sub_f32_e32 v4, v9, v78
	v_fma_f32 v2, v31, 2.0, -v6
	v_fma_f32 v3, v32, 2.0, -v7
	v_mad_u64_u32 v[30:31], s[2:3], s3, v89, v[0:1]
	v_fma_f32 v0, v8, 2.0, -v5
	v_fma_f32 v1, v9, 2.0, -v4
	v_sub_f32_e32 v0, v2, v0
	v_sub_f32_e32 v1, v3, v1
	v_add_f32_e32 v4, v6, v4
	v_sub_f32_e32 v5, v7, v5
	v_fma_f32 v2, v2, 2.0, -v0
	v_fma_f32 v3, v3, 2.0, -v1
	;; [unrolled: 1-line block ×4, first 2 shown]
	ds_write2_b64 v10, v[2:3], v[6:7] offset1:16
	ds_write2_b64 v10, v[0:1], v[4:5] offset0:32 offset1:48
	buffer_load_dword v0, off, s[20:23], 0 offset:96 ; 4-byte Folded Reload
	v_sub_f32_e32 v32, v69, v80
	v_sub_f32_e32 v31, v70, v99
	v_fma_f32 v11, v105, 2.0, -v73
	v_fma_f32 v12, v106, 2.0, -v74
	;; [unrolled: 1-line block ×4, first 2 shown]
	v_sub_f32_e32 v8, v11, v8
	v_sub_f32_e32 v9, v12, v9
	v_add_f32_e32 v31, v73, v31
	v_sub_f32_e32 v32, v74, v32
	v_fma_f32 v11, v11, 2.0, -v8
	v_fma_f32 v12, v12, 2.0, -v9
	;; [unrolled: 1-line block ×4, first 2 shown]
	s_waitcnt vmcnt(0)
	ds_write2_b64 v0, v[11:12], v[92:93] offset1:16
	ds_write2_b64 v0, v[8:9], v[31:32] offset0:32 offset1:48
	buffer_load_dword v0, off, s[20:23], 0 offset:100 ; 4-byte Folded Reload
	v_sub_f32_e32 v69, v71, v100
	v_sub_f32_e32 v70, v72, v101
	v_fma_f32 v105, v107, 2.0, -v75
	v_fma_f32 v106, v108, 2.0, -v76
	;; [unrolled: 1-line block ×4, first 2 shown]
	v_sub_f32_e32 v103, v105, v71
	v_sub_f32_e32 v104, v106, v72
	v_add_f32_e32 v107, v75, v70
	v_sub_f32_e32 v108, v76, v69
	v_fma_f32 v105, v105, 2.0, -v103
	v_fma_f32 v106, v106, 2.0, -v104
	;; [unrolled: 1-line block ×4, first 2 shown]
	s_waitcnt vmcnt(0)
	ds_write2_b64 v0, v[105:106], v[109:110] offset1:16
	ds_write2_b64 v0, v[103:104], v[107:108] offset0:32 offset1:48
	s_waitcnt lgkmcnt(0)
	s_barrier
	ds_read2st64_b64 v[103:106], v98 offset1:8
	ds_read2st64_b64 v[107:110], v98 offset0:16 offset1:24
	ds_read2st64_b64 v[111:114], v98 offset0:32 offset1:40
	;; [unrolled: 1-line block ×4, first 2 shown]
	s_waitcnt lgkmcnt(4)
	v_mul_f32_e32 v0, v26, v106
	v_mul_f32_e32 v1, v26, v105
	s_waitcnt lgkmcnt(3)
	v_mul_f32_e32 v2, v28, v108
	v_mul_f32_e32 v3, v28, v107
	v_fmac_f32_e32 v0, v25, v105
	v_fma_f32 v1, v25, v106, -v1
	v_fmac_f32_e32 v2, v27, v107
	v_fma_f32 v3, v27, v108, -v3
	ds_read2st64_b64 v[25:28], v98 offset0:80 offset1:88
	v_mul_f32_e32 v5, v14, v109
	v_mul_f32_e32 v4, v14, v110
	v_fma_f32 v9, v13, v110, -v5
	s_waitcnt lgkmcnt(3)
	v_mul_f32_e32 v10, v16, v112
	v_mul_f32_e32 v5, v16, v111
	v_fmac_f32_e32 v4, v13, v109
	v_fmac_f32_e32 v10, v15, v111
	v_fma_f32 v11, v15, v112, -v5
	ds_read2st64_b64 v[13:16], v98 offset0:96 offset1:104
	v_mul_f32_e32 v5, v62, v113
	v_mul_f32_e32 v12, v62, v114
	v_fma_f32 v31, v61, v114, -v5
	s_waitcnt lgkmcnt(3)
	v_mul_f32_e32 v32, v64, v116
	v_mul_f32_e32 v5, v64, v115
	v_fmac_f32_e32 v12, v61, v113
	v_fmac_f32_e32 v32, v63, v115
	v_fma_f32 v61, v63, v116, -v5
	v_mul_f32_e32 v62, v66, v118
	v_mul_f32_e32 v63, v66, v117
	s_waitcnt lgkmcnt(2)
	v_mul_f32_e32 v66, v22, v122
	v_mul_f32_e32 v22, v22, v121
	v_fmac_f32_e32 v66, v21, v121
	v_fma_f32 v21, v21, v122, -v22
	s_waitcnt lgkmcnt(1)
	v_mul_f32_e32 v22, v24, v26
	v_mul_f32_e32 v24, v24, v25
	ds_read2st64_b64 v[5:8], v98 offset0:112 offset1:120
	v_fmac_f32_e32 v22, v23, v25
	v_fma_f32 v23, v23, v26, -v24
	v_mul_f32_e32 v24, v18, v28
	v_mul_f32_e32 v18, v18, v27
	v_fmac_f32_e32 v24, v17, v27
	v_fma_f32 v17, v17, v28, -v18
	s_waitcnt lgkmcnt(1)
	v_mul_f32_e32 v18, v20, v14
	v_fmac_f32_e32 v18, v19, v13
	v_mul_f32_e32 v13, v20, v13
	v_fma_f32 v13, v19, v14, -v13
	v_mul_f32_e32 v14, v58, v16
	v_fmac_f32_e32 v14, v57, v15
	v_mul_f32_e32 v15, v58, v15
	v_fma_f32 v15, v57, v16, -v15
	s_waitcnt lgkmcnt(0)
	v_mul_f32_e32 v16, v60, v6
	v_fmac_f32_e32 v62, v65, v117
	v_fma_f32 v63, v65, v118, -v63
	v_mul_f32_e32 v65, v68, v119
	v_fmac_f32_e32 v16, v59, v5
	v_mul_f32_e32 v5, v60, v5
	v_fma_f32 v65, v67, v120, -v65
	v_fma_f32 v5, v59, v6, -v5
	v_mul_f32_e32 v64, v68, v120
	v_mul_f32_e32 v6, v91, v8
	v_sub_f32_e32 v19, v104, v65
	v_sub_f32_e32 v13, v11, v13
	v_sub_f32_e32 v23, v3, v23
	v_sub_f32_e32 v5, v61, v5
	v_fmac_f32_e32 v64, v67, v119
	v_fmac_f32_e32 v6, v90, v7
	v_mul_f32_e32 v7, v91, v7
	v_fma_f32 v25, v104, 2.0, -v19
	v_fma_f32 v11, v11, 2.0, -v13
	;; [unrolled: 1-line block ×4, first 2 shown]
	v_fma_f32 v7, v90, v8, -v7
	v_sub_f32_e32 v8, v103, v64
	v_sub_f32_e32 v11, v25, v11
	;; [unrolled: 1-line block ×5, first 2 shown]
	v_fma_f32 v25, v25, 2.0, -v11
	v_add_f32_e32 v13, v8, v13
	v_fma_f32 v3, v3, 2.0, -v27
	v_fma_f32 v20, v103, 2.0, -v8
	;; [unrolled: 1-line block ×3, first 2 shown]
	v_sub_f32_e32 v16, v32, v16
	v_sub_f32_e32 v28, v0, v66
	;; [unrolled: 1-line block ×4, first 2 shown]
	v_fma_f32 v8, v8, 2.0, -v13
	v_add_f32_e32 v5, v22, v5
	v_sub_f32_e32 v59, v25, v3
	v_fma_f32 v2, v2, 2.0, -v22
	v_fma_f32 v26, v32, 2.0, -v16
	v_sub_f32_e32 v21, v1, v21
	v_sub_f32_e32 v14, v12, v14
	v_fma_f32 v31, v31, 2.0, -v15
	v_sub_f32_e32 v24, v4, v24
	v_sub_f32_e32 v7, v63, v7
	v_fma_f32 v19, v19, 2.0, -v18
	v_sub_f32_e32 v16, v23, v16
	v_fma_f32 v22, v22, 2.0, -v5
	v_add_f32_e32 v15, v28, v15
	v_fma_f32 v3, v25, 2.0, -v59
	v_mov_b32_e32 v25, v8
	v_fma_f32 v0, v0, 2.0, -v28
	v_fma_f32 v12, v12, 2.0, -v14
	v_sub_f32_e32 v17, v9, v17
	v_sub_f32_e32 v6, v62, v6
	v_fma_f32 v57, v63, 2.0, -v7
	v_fma_f32 v23, v23, 2.0, -v16
	v_sub_f32_e32 v14, v21, v14
	v_fma_f32 v28, v28, 2.0, -v15
	v_add_f32_e32 v7, v24, v7
	v_fmac_f32_e32 v25, 0xbf3504f3, v22
	v_mov_b32_e32 v60, v19
	v_fma_f32 v1, v1, 2.0, -v21
	v_fma_f32 v4, v4, 2.0, -v24
	;; [unrolled: 1-line block ×4, first 2 shown]
	v_sub_f32_e32 v10, v20, v10
	v_sub_f32_e32 v26, v2, v26
	v_fma_f32 v21, v21, 2.0, -v14
	v_sub_f32_e32 v6, v17, v6
	v_fma_f32 v24, v24, 2.0, -v7
	v_fmac_f32_e32 v60, 0xbf3504f3, v23
	v_fmac_f32_e32 v25, 0x3f3504f3, v23
	v_mov_b32_e32 v23, v28
	v_fma_f32 v20, v20, 2.0, -v10
	v_fma_f32 v2, v2, 2.0, -v26
	v_sub_f32_e32 v12, v0, v12
	v_sub_f32_e32 v31, v1, v31
	;; [unrolled: 1-line block ×4, first 2 shown]
	v_fma_f32 v17, v17, 2.0, -v6
	v_sub_f32_e32 v61, v11, v26
	v_mov_b32_e32 v62, v13
	v_fmac_f32_e32 v23, 0xbf3504f3, v24
	v_mov_b32_e32 v26, v21
	v_fma_f32 v0, v0, 2.0, -v12
	v_fma_f32 v1, v1, 2.0, -v31
	;; [unrolled: 1-line block ×4, first 2 shown]
	v_sub_f32_e32 v58, v20, v2
	v_fmac_f32_e32 v60, 0xbf3504f3, v22
	v_fma_f32 v8, v8, 2.0, -v25
	v_fmac_f32_e32 v62, 0x3f3504f3, v5
	v_mov_b32_e32 v63, v18
	v_fmac_f32_e32 v26, 0xbf3504f3, v17
	v_fmac_f32_e32 v23, 0x3f3504f3, v17
	v_fma_f32 v2, v20, 2.0, -v58
	v_fma_f32 v19, v19, 2.0, -v60
	v_fmac_f32_e32 v63, 0x3f3504f3, v16
	v_fmac_f32_e32 v62, 0x3f3504f3, v16
	v_sub_f32_e32 v20, v0, v4
	v_sub_f32_e32 v22, v1, v9
	v_fmac_f32_e32 v26, 0xbf3504f3, v24
	v_fma_f32 v9, v28, 2.0, -v23
	v_mov_b32_e32 v4, v8
	v_add_f32_e32 v27, v10, v27
	v_fmac_f32_e32 v63, 0xbf3504f3, v5
	v_fma_f32 v16, v13, 2.0, -v62
	v_fma_f32 v13, v21, 2.0, -v26
	v_add_f32_e32 v28, v12, v57
	v_mov_b32_e32 v57, v15
	v_fmac_f32_e32 v4, 0xbf6c835e, v9
	v_mov_b32_e32 v5, v19
	v_fma_f32 v10, v10, 2.0, -v27
	v_fma_f32 v11, v11, 2.0, -v61
	v_sub_f32_e32 v32, v31, v32
	v_fmac_f32_e32 v57, 0x3f3504f3, v7
	v_mov_b32_e32 v64, v14
	v_fmac_f32_e32 v5, 0xbf6c835e, v13
	v_fmac_f32_e32 v4, 0x3ec3ef15, v13
	v_fma_f32 v12, v12, 2.0, -v28
	v_fma_f32 v17, v31, 2.0, -v32
	v_fmac_f32_e32 v64, 0x3f3504f3, v6
	v_fmac_f32_e32 v57, 0x3f3504f3, v6
	;; [unrolled: 1-line block ×3, first 2 shown]
	v_fma_f32 v6, v8, 2.0, -v4
	v_mov_b32_e32 v8, v10
	v_mov_b32_e32 v9, v11
	v_fmac_f32_e32 v8, 0xbf3504f3, v12
	v_fmac_f32_e32 v9, 0xbf3504f3, v17
	v_fma_f32 v0, v0, 2.0, -v20
	v_fmac_f32_e32 v64, 0xbf3504f3, v7
	v_fma_f32 v15, v15, 2.0, -v57
	v_fmac_f32_e32 v8, 0x3f3504f3, v17
	v_fmac_f32_e32 v9, 0xbf3504f3, v12
	v_mov_b32_e32 v12, v16
	v_sub_f32_e32 v17, v59, v20
	v_mov_b32_e32 v20, v25
	v_fma_f32 v18, v18, 2.0, -v63
	v_fma_f32 v14, v14, 2.0, -v64
	v_fmac_f32_e32 v12, 0xbec3ef15, v15
	v_fmac_f32_e32 v20, 0x3ec3ef15, v23
	v_mov_b32_e32 v13, v18
	v_fmac_f32_e32 v12, 0x3f6c835e, v14
	v_fmac_f32_e32 v20, 0x3f6c835e, v26
	v_mov_b32_e32 v24, v27
	v_fma_f32 v1, v1, 2.0, -v22
	v_fmac_f32_e32 v13, 0xbec3ef15, v14
	v_fma_f32 v14, v16, 2.0, -v12
	v_add_f32_e32 v16, v58, v22
	v_mov_b32_e32 v21, v60
	v_fma_f32 v22, v25, 2.0, -v20
	v_fmac_f32_e32 v24, 0x3f3504f3, v28
	v_mov_b32_e32 v25, v61
	v_fmac_f32_e32 v21, 0x3ec3ef15, v26
	v_fmac_f32_e32 v25, 0x3f3504f3, v32
	v_fmac_f32_e32 v24, 0x3f3504f3, v32
	v_mov_b32_e32 v31, v62
	v_mov_b32_e32 v32, v63
	v_sub_f32_e32 v0, v2, v0
	v_sub_f32_e32 v1, v3, v1
	v_fmac_f32_e32 v13, 0xbf6c835e, v15
	v_fmac_f32_e32 v21, 0xbf6c835e, v23
	;; [unrolled: 1-line block ×5, first 2 shown]
	v_fma_f32 v2, v2, 2.0, -v0
	v_fma_f32 v3, v3, 2.0, -v1
	;; [unrolled: 1-line block ×11, first 2 shown]
	v_fmac_f32_e32 v31, 0x3ec3ef15, v64
	v_fmac_f32_e32 v32, 0xbec3ef15, v57
	v_fma_f32 v57, v62, 2.0, -v31
	v_fma_f32 v58, v63, 2.0, -v32
	s_barrier
	ds_write2st64_b64 v102, v[2:3], v[6:7] offset1:1
	ds_write2st64_b64 v102, v[10:11], v[14:15] offset0:2 offset1:3
	ds_write2st64_b64 v102, v[18:19], v[22:23] offset0:4 offset1:5
	;; [unrolled: 1-line block ×7, first 2 shown]
	s_waitcnt lgkmcnt(0)
	s_barrier
	ds_read2st64_b64 v[1:4], v98 offset1:8
	ds_read2st64_b64 v[5:8], v98 offset0:16 offset1:24
	ds_read2st64_b64 v[9:12], v98 offset0:32 offset1:40
	;; [unrolled: 1-line block ×7, first 2 shown]
	s_waitcnt lgkmcnt(6)
	v_mul_f32_e32 v0, v34, v6
	v_fmac_f32_e32 v0, v33, v5
	v_mul_f32_e32 v5, v34, v5
	v_fma_f32 v5, v33, v6, -v5
	s_waitcnt lgkmcnt(5)
	v_mul_f32_e32 v6, v36, v10
	v_fmac_f32_e32 v6, v35, v9
	v_mul_f32_e32 v9, v36, v9
	v_fma_f32 v9, v35, v10, -v9
	s_waitcnt lgkmcnt(4)
	v_mul_f32_e32 v10, v46, v14
	v_fmac_f32_e32 v10, v45, v13
	v_mul_f32_e32 v13, v46, v13
	v_mul_f32_e32 v32, v38, v8
	v_fma_f32 v13, v45, v14, -v13
	s_waitcnt lgkmcnt(3)
	v_mul_f32_e32 v14, v48, v18
	v_fmac_f32_e32 v32, v37, v7
	v_mul_f32_e32 v7, v38, v7
	v_fmac_f32_e32 v14, v47, v17
	v_mul_f32_e32 v17, v48, v17
	v_fma_f32 v33, v37, v8, -v7
	v_mul_f32_e32 v7, v40, v11
	v_fma_f32 v17, v47, v18, -v17
	s_waitcnt lgkmcnt(2)
	v_mul_f32_e32 v18, v54, v22
	v_fma_f32 v35, v39, v12, -v7
	v_mul_f32_e32 v7, v42, v15
	v_fmac_f32_e32 v18, v53, v21
	v_mul_f32_e32 v21, v54, v21
	v_fma_f32 v37, v41, v16, -v7
	v_mul_f32_e32 v38, v44, v20
	v_mul_f32_e32 v7, v44, v19
	v_fma_f32 v21, v53, v22, -v21
	s_waitcnt lgkmcnt(1)
	v_mul_f32_e32 v22, v56, v26
	v_fmac_f32_e32 v38, v43, v19
	v_fma_f32 v19, v43, v20, -v7
	v_mul_f32_e32 v20, v50, v24
	v_mul_f32_e32 v7, v50, v23
	v_fmac_f32_e32 v22, v55, v25
	v_mul_f32_e32 v25, v56, v25
	v_fmac_f32_e32 v20, v49, v23
	v_fma_f32 v23, v49, v24, -v7
	v_mul_f32_e32 v24, v52, v28
	v_mul_f32_e32 v7, v52, v27
	v_fma_f32 v25, v55, v26, -v25
	s_waitcnt lgkmcnt(0)
	v_mul_f32_e32 v26, v97, v90
	v_mul_f32_e32 v31, v97, v89
	;; [unrolled: 1-line block ×3, first 2 shown]
	v_fmac_f32_e32 v24, v51, v27
	v_fma_f32 v27, v51, v28, -v7
	v_mul_f32_e32 v7, v95, v91
	v_fmac_f32_e32 v26, v96, v89
	v_fma_f32 v31, v96, v90, -v31
	v_fmac_f32_e32 v34, v39, v11
	v_mul_f32_e32 v36, v42, v16
	v_fma_f32 v39, v94, v92, -v7
	v_sub_f32_e32 v7, v1, v14
	v_sub_f32_e32 v8, v2, v17
	;; [unrolled: 1-line block ×4, first 2 shown]
	v_fmac_f32_e32 v36, v41, v15
	v_fma_f32 v2, v2, 2.0, -v8
	v_fma_f32 v9, v9, 2.0, -v12
	v_sub_f32_e32 v14, v0, v18
	v_sub_f32_e32 v15, v5, v21
	;; [unrolled: 1-line block ×4, first 2 shown]
	v_add_f32_e32 v22, v7, v12
	v_sub_f32_e32 v25, v8, v11
	v_fma_f32 v1, v1, 2.0, -v7
	v_fma_f32 v6, v6, 2.0, -v11
	;; [unrolled: 1-line block ×6, first 2 shown]
	v_sub_f32_e32 v21, v2, v9
	v_fma_f32 v9, v7, 2.0, -v22
	v_fma_f32 v11, v8, 2.0, -v25
	v_add_f32_e32 v17, v14, v17
	v_sub_f32_e32 v26, v15, v16
	v_sub_f32_e32 v18, v1, v6
	;; [unrolled: 1-line block ×4, first 2 shown]
	v_fma_f32 v10, v14, 2.0, -v17
	v_fma_f32 v14, v15, 2.0, -v26
	v_mov_b32_e32 v7, v9
	v_mov_b32_e32 v8, v11
	;; [unrolled: 1-line block ×3, first 2 shown]
	v_mul_f32_e32 v28, v95, v92
	v_fma_f32 v6, v1, 2.0, -v18
	v_fma_f32 v2, v2, 2.0, -v21
	;; [unrolled: 1-line block ×4, first 2 shown]
	v_fmac_f32_e32 v7, 0xbf3504f3, v10
	v_fmac_f32_e32 v8, 0xbf3504f3, v14
	v_sub_f32_e32 v12, v21, v12
	v_fmac_f32_e32 v15, 0x3f3504f3, v17
	v_mov_b32_e32 v16, v25
	v_fmac_f32_e32 v28, v94, v91
	v_sub_f32_e32 v0, v6, v0
	v_sub_f32_e32 v1, v2, v1
	v_fmac_f32_e32 v7, 0x3f3504f3, v14
	v_fmac_f32_e32 v8, 0xbf3504f3, v10
	v_fma_f32 v14, v21, 2.0, -v12
	v_fmac_f32_e32 v16, 0x3f3504f3, v26
	v_fmac_f32_e32 v15, 0x3f3504f3, v26
	v_sub_f32_e32 v19, v4, v19
	v_sub_f32_e32 v21, v34, v24
	;; [unrolled: 1-line block ×4, first 2 shown]
	v_fma_f32 v5, v6, 2.0, -v0
	v_fma_f32 v6, v2, 2.0, -v1
	;; [unrolled: 1-line block ×3, first 2 shown]
	v_add_f32_e32 v11, v18, v13
	v_fmac_f32_e32 v16, 0xbf3504f3, v17
	v_fma_f32 v17, v22, 2.0, -v15
	v_sub_f32_e32 v2, v3, v38
	v_sub_f32_e32 v22, v35, v27
	;; [unrolled: 1-line block ×3, first 2 shown]
	v_fma_f32 v27, v33, 2.0, -v23
	v_sub_f32_e32 v28, v36, v28
	v_fma_f32 v33, v37, 2.0, -v31
	v_sub_f32_e32 v37, v19, v21
	v_fma_f32 v13, v18, 2.0, -v11
	v_fma_f32 v18, v25, 2.0, -v16
	;; [unrolled: 1-line block ×6, first 2 shown]
	v_add_f32_e32 v36, v2, v22
	v_fma_f32 v38, v19, 2.0, -v37
	v_sub_f32_e32 v40, v23, v28
	v_fma_f32 v3, v3, 2.0, -v2
	v_fma_f32 v24, v34, 2.0, -v21
	v_sub_f32_e32 v35, v4, v25
	v_fma_f32 v25, v2, 2.0, -v36
	v_sub_f32_e32 v32, v26, v32
	v_add_f32_e32 v39, v20, v31
	v_fma_f32 v23, v23, 2.0, -v40
	v_mov_b32_e32 v22, v38
	v_sub_f32_e32 v34, v3, v24
	v_sub_f32_e32 v33, v27, v33
	v_fma_f32 v2, v26, 2.0, -v32
	v_fma_f32 v26, v20, 2.0, -v39
	v_mov_b32_e32 v21, v25
	v_fmac_f32_e32 v22, 0xbf3504f3, v23
	v_fma_f32 v24, v3, 2.0, -v34
	v_fma_f32 v4, v4, 2.0, -v35
	;; [unrolled: 1-line block ×3, first 2 shown]
	v_fmac_f32_e32 v21, 0xbf3504f3, v26
	v_fmac_f32_e32 v22, 0xbf3504f3, v26
	v_sub_f32_e32 v26, v35, v32
	v_mov_b32_e32 v31, v36
	v_mov_b32_e32 v32, v37
	v_sub_f32_e32 v2, v24, v2
	v_sub_f32_e32 v3, v4, v3
	v_fmac_f32_e32 v21, 0x3f3504f3, v23
	v_fmac_f32_e32 v31, 0x3f3504f3, v39
	v_fmac_f32_e32 v32, 0x3f3504f3, v40
	v_fma_f32 v19, v24, 2.0, -v2
	v_fma_f32 v20, v4, 2.0, -v3
	;; [unrolled: 1-line block ×3, first 2 shown]
	v_add_f32_e32 v25, v34, v33
	v_fmac_f32_e32 v31, 0x3f3504f3, v40
	v_fmac_f32_e32 v32, 0xbf3504f3, v39
	v_fma_f32 v9, v9, 2.0, -v7
	v_fma_f32 v24, v38, 2.0, -v22
	;; [unrolled: 1-line block ×6, first 2 shown]
	ds_write2st64_b64 v98, v[5:6], v[19:20] offset1:8
	ds_write2st64_b64 v98, v[9:10], v[23:24] offset0:16 offset1:24
	ds_write2st64_b64 v98, v[13:14], v[27:28] offset0:32 offset1:40
	;; [unrolled: 1-line block ×7, first 2 shown]
	s_load_dwordx2 s[2:3], s[4:5], 0x38
	v_mad_u64_u32 v[5:6], s[4:5], s0, v79, 0
	s_waitcnt lgkmcnt(0)
	s_barrier
	ds_read2st64_b64 v[1:4], v98 offset1:8
	v_mad_u64_u32 v[6:7], s[4:5], s1, v79, v[6:7]
	v_lshlrev_b64 v[7:8], 3, v[29:30]
	s_lshl_b64 s[0:1], s[0:1], 12
	s_waitcnt lgkmcnt(0)
	v_mul_f32_e32 v0, v88, v2
	v_fmac_f32_e32 v0, v87, v1
	v_mul_f32_e32 v1, v88, v1
	v_fma_f32 v1, v87, v2, -v1
	v_mov_b32_e32 v2, s3
	v_add_co_u32_e32 v7, vcc, s2, v7
	v_lshlrev_b64 v[5:6], 3, v[5:6]
	v_addc_co_u32_e32 v2, vcc, v2, v8, vcc
	v_add_co_u32_e32 v5, vcc, v7, v5
	v_mul_f32_e32 v0, 0x39000000, v0
	v_mul_f32_e32 v1, 0x39000000, v1
	v_addc_co_u32_e32 v6, vcc, v2, v6, vcc
	global_store_dwordx2 v[5:6], v[0:1], off
	v_mul_f32_e32 v0, v86, v4
	v_fmac_f32_e32 v0, v85, v3
	v_mul_f32_e32 v7, 0x39000000, v0
	v_mul_f32_e32 v0, v86, v3
	v_fma_f32 v0, v85, v4, -v0
	v_mul_f32_e32 v8, 0x39000000, v0
	ds_read2st64_b64 v[0:3], v98 offset0:16 offset1:24
	v_mov_b32_e32 v9, s1
	v_add_co_u32_e32 v4, vcc, s0, v5
	v_addc_co_u32_e32 v5, vcc, v6, v9, vcc
	s_waitcnt lgkmcnt(0)
	v_mul_f32_e32 v6, v82, v1
	v_fmac_f32_e32 v6, v81, v0
	v_mul_f32_e32 v0, v82, v0
	v_fma_f32 v0, v81, v1, -v0
	global_store_dwordx2 v[4:5], v[7:8], off
	v_mul_f32_e32 v7, 0x39000000, v0
	v_add_co_u32_e32 v4, vcc, s0, v4
	v_mul_f32_e32 v0, v84, v3
	v_mul_f32_e32 v6, 0x39000000, v6
	v_addc_co_u32_e32 v5, vcc, v5, v9, vcc
	v_fmac_f32_e32 v0, v83, v2
	global_store_dwordx2 v[4:5], v[6:7], off
	v_mul_f32_e32 v6, 0x39000000, v0
	v_mul_f32_e32 v0, v84, v2
	v_fma_f32 v0, v83, v3, -v0
	v_add_co_u32_e32 v4, vcc, s0, v4
	v_mul_f32_e32 v7, 0x39000000, v0
	v_addc_co_u32_e32 v5, vcc, v5, v9, vcc
	global_store_dwordx2 v[4:5], v[6:7], off
	ds_read2st64_b64 v[0:3], v98 offset0:32 offset1:40
	buffer_load_dword v7, off, s[20:23], 0 offset:88 ; 4-byte Folded Reload
	buffer_load_dword v8, off, s[20:23], 0 offset:92 ; 4-byte Folded Reload
	v_add_co_u32_e32 v4, vcc, s0, v4
	v_addc_co_u32_e32 v5, vcc, v5, v9, vcc
	s_waitcnt vmcnt(0) lgkmcnt(0)
	v_mul_f32_e32 v6, v8, v1
	v_fmac_f32_e32 v6, v7, v0
	v_mul_f32_e32 v0, v8, v0
	v_fma_f32 v0, v7, v1, -v0
	v_mul_f32_e32 v6, 0x39000000, v6
	v_mul_f32_e32 v7, 0x39000000, v0
	global_store_dwordx2 v[4:5], v[6:7], off
	buffer_load_dword v7, off, s[20:23], 0 offset:80 ; 4-byte Folded Reload
	s_nop 0
	buffer_load_dword v8, off, s[20:23], 0 offset:84 ; 4-byte Folded Reload
	v_add_co_u32_e32 v4, vcc, s0, v4
	v_addc_co_u32_e32 v5, vcc, v5, v9, vcc
	s_waitcnt vmcnt(0)
	v_mul_f32_e32 v0, v8, v3
	v_fmac_f32_e32 v0, v7, v2
	v_mul_f32_e32 v6, 0x39000000, v0
	v_mul_f32_e32 v0, v8, v2
	v_fma_f32 v0, v7, v3, -v0
	v_mul_f32_e32 v7, 0x39000000, v0
	global_store_dwordx2 v[4:5], v[6:7], off
	ds_read2st64_b64 v[0:3], v98 offset0:48 offset1:56
	buffer_load_dword v7, off, s[20:23], 0 offset:72 ; 4-byte Folded Reload
	buffer_load_dword v8, off, s[20:23], 0 offset:76 ; 4-byte Folded Reload
	v_add_co_u32_e32 v4, vcc, s0, v4
	v_addc_co_u32_e32 v5, vcc, v5, v9, vcc
	s_waitcnt vmcnt(0) lgkmcnt(0)
	v_mul_f32_e32 v6, v8, v1
	v_fmac_f32_e32 v6, v7, v0
	v_mul_f32_e32 v0, v8, v0
	v_fma_f32 v0, v7, v1, -v0
	v_mul_f32_e32 v6, 0x39000000, v6
	v_mul_f32_e32 v7, 0x39000000, v0
	global_store_dwordx2 v[4:5], v[6:7], off
	buffer_load_dword v7, off, s[20:23], 0 offset:64 ; 4-byte Folded Reload
	s_nop 0
	buffer_load_dword v8, off, s[20:23], 0 offset:68 ; 4-byte Folded Reload
	v_add_co_u32_e32 v4, vcc, s0, v4
	v_addc_co_u32_e32 v5, vcc, v5, v9, vcc
	s_waitcnt vmcnt(0)
	v_mul_f32_e32 v0, v8, v3
	v_fmac_f32_e32 v0, v7, v2
	v_mul_f32_e32 v6, 0x39000000, v0
	v_mul_f32_e32 v0, v8, v2
	v_fma_f32 v0, v7, v3, -v0
	v_mul_f32_e32 v7, 0x39000000, v0
	;; [unrolled: 26-line block ×5, first 2 shown]
	global_store_dwordx2 v[4:5], v[6:7], off
	ds_read2st64_b64 v[0:3], v98 offset0:112 offset1:120
	buffer_load_dword v7, off, s[20:23], 0 offset:8 ; 4-byte Folded Reload
	buffer_load_dword v8, off, s[20:23], 0 offset:12 ; 4-byte Folded Reload
	s_waitcnt vmcnt(0) lgkmcnt(0)
	v_mul_f32_e32 v6, v8, v1
	v_fmac_f32_e32 v6, v7, v0
	v_mul_f32_e32 v0, v8, v0
	v_fma_f32 v0, v7, v1, -v0
	v_mul_f32_e32 v7, 0x39000000, v0
	v_add_co_u32_e32 v0, vcc, s0, v4
	v_mul_f32_e32 v6, 0x39000000, v6
	v_addc_co_u32_e32 v1, vcc, v5, v9, vcc
	global_store_dwordx2 v[0:1], v[6:7], off
	buffer_load_dword v5, off, s[20:23], 0  ; 4-byte Folded Reload
	s_nop 0
	buffer_load_dword v6, off, s[20:23], 0 offset:4 ; 4-byte Folded Reload
	v_add_co_u32_e32 v0, vcc, s0, v0
	v_addc_co_u32_e32 v1, vcc, v1, v9, vcc
	s_waitcnt vmcnt(0)
	v_mul_f32_e32 v4, v6, v3
	v_fmac_f32_e32 v4, v5, v2
	v_mul_f32_e32 v2, v6, v2
	v_fma_f32 v2, v5, v3, -v2
	v_mul_f32_e32 v4, 0x39000000, v4
	v_mul_f32_e32 v5, 0x39000000, v2
	global_store_dwordx2 v[0:1], v[4:5], off
.LBB0_2:
	s_endpgm
	.section	.rodata,"a",@progbits
	.p2align	6, 0x0
	.amdhsa_kernel bluestein_single_fwd_len8192_dim1_sp_op_CI_CI
		.amdhsa_group_segment_fixed_size 65536
		.amdhsa_private_segment_fixed_size 108
		.amdhsa_kernarg_size 104
		.amdhsa_user_sgpr_count 6
		.amdhsa_user_sgpr_private_segment_buffer 1
		.amdhsa_user_sgpr_dispatch_ptr 0
		.amdhsa_user_sgpr_queue_ptr 0
		.amdhsa_user_sgpr_kernarg_segment_ptr 1
		.amdhsa_user_sgpr_dispatch_id 0
		.amdhsa_user_sgpr_flat_scratch_init 0
		.amdhsa_user_sgpr_private_segment_size 0
		.amdhsa_uses_dynamic_stack 0
		.amdhsa_system_sgpr_private_segment_wavefront_offset 1
		.amdhsa_system_sgpr_workgroup_id_x 1
		.amdhsa_system_sgpr_workgroup_id_y 0
		.amdhsa_system_sgpr_workgroup_id_z 0
		.amdhsa_system_sgpr_workgroup_info 0
		.amdhsa_system_vgpr_workitem_id 0
		.amdhsa_next_free_vgpr 128
		.amdhsa_next_free_sgpr 24
		.amdhsa_reserve_vcc 1
		.amdhsa_reserve_flat_scratch 0
		.amdhsa_float_round_mode_32 0
		.amdhsa_float_round_mode_16_64 0
		.amdhsa_float_denorm_mode_32 3
		.amdhsa_float_denorm_mode_16_64 3
		.amdhsa_dx10_clamp 1
		.amdhsa_ieee_mode 1
		.amdhsa_fp16_overflow 0
		.amdhsa_exception_fp_ieee_invalid_op 0
		.amdhsa_exception_fp_denorm_src 0
		.amdhsa_exception_fp_ieee_div_zero 0
		.amdhsa_exception_fp_ieee_overflow 0
		.amdhsa_exception_fp_ieee_underflow 0
		.amdhsa_exception_fp_ieee_inexact 0
		.amdhsa_exception_int_div_zero 0
	.end_amdhsa_kernel
	.text
.Lfunc_end0:
	.size	bluestein_single_fwd_len8192_dim1_sp_op_CI_CI, .Lfunc_end0-bluestein_single_fwd_len8192_dim1_sp_op_CI_CI
                                        ; -- End function
	.section	.AMDGPU.csdata,"",@progbits
; Kernel info:
; codeLenInByte = 13220
; NumSgprs: 28
; NumVgprs: 128
; ScratchSize: 108
; MemoryBound: 0
; FloatMode: 240
; IeeeMode: 1
; LDSByteSize: 65536 bytes/workgroup (compile time only)
; SGPRBlocks: 3
; VGPRBlocks: 31
; NumSGPRsForWavesPerEU: 28
; NumVGPRsForWavesPerEU: 128
; Occupancy: 2
; WaveLimiterHint : 1
; COMPUTE_PGM_RSRC2:SCRATCH_EN: 1
; COMPUTE_PGM_RSRC2:USER_SGPR: 6
; COMPUTE_PGM_RSRC2:TRAP_HANDLER: 0
; COMPUTE_PGM_RSRC2:TGID_X_EN: 1
; COMPUTE_PGM_RSRC2:TGID_Y_EN: 0
; COMPUTE_PGM_RSRC2:TGID_Z_EN: 0
; COMPUTE_PGM_RSRC2:TIDIG_COMP_CNT: 0
	.type	__hip_cuid_7bd814c639824481,@object ; @__hip_cuid_7bd814c639824481
	.section	.bss,"aw",@nobits
	.globl	__hip_cuid_7bd814c639824481
__hip_cuid_7bd814c639824481:
	.byte	0                               ; 0x0
	.size	__hip_cuid_7bd814c639824481, 1

	.ident	"AMD clang version 19.0.0git (https://github.com/RadeonOpenCompute/llvm-project roc-6.4.0 25133 c7fe45cf4b819c5991fe208aaa96edf142730f1d)"
	.section	".note.GNU-stack","",@progbits
	.addrsig
	.addrsig_sym __hip_cuid_7bd814c639824481
	.amdgpu_metadata
---
amdhsa.kernels:
  - .args:
      - .actual_access:  read_only
        .address_space:  global
        .offset:         0
        .size:           8
        .value_kind:     global_buffer
      - .actual_access:  read_only
        .address_space:  global
        .offset:         8
        .size:           8
        .value_kind:     global_buffer
      - .actual_access:  read_only
        .address_space:  global
        .offset:         16
        .size:           8
        .value_kind:     global_buffer
      - .actual_access:  read_only
        .address_space:  global
        .offset:         24
        .size:           8
        .value_kind:     global_buffer
      - .actual_access:  read_only
        .address_space:  global
        .offset:         32
        .size:           8
        .value_kind:     global_buffer
      - .offset:         40
        .size:           8
        .value_kind:     by_value
      - .address_space:  global
        .offset:         48
        .size:           8
        .value_kind:     global_buffer
      - .address_space:  global
        .offset:         56
        .size:           8
        .value_kind:     global_buffer
      - .address_space:  global
        .offset:         64
        .size:           8
        .value_kind:     global_buffer
      - .address_space:  global
        .offset:         72
        .size:           8
        .value_kind:     global_buffer
      - .offset:         80
        .size:           4
        .value_kind:     by_value
      - .address_space:  global
        .offset:         88
        .size:           8
        .value_kind:     global_buffer
      - .address_space:  global
        .offset:         96
        .size:           8
        .value_kind:     global_buffer
    .group_segment_fixed_size: 65536
    .kernarg_segment_align: 8
    .kernarg_segment_size: 104
    .language:       OpenCL C
    .language_version:
      - 2
      - 0
    .max_flat_workgroup_size: 512
    .name:           bluestein_single_fwd_len8192_dim1_sp_op_CI_CI
    .private_segment_fixed_size: 108
    .sgpr_count:     28
    .sgpr_spill_count: 0
    .symbol:         bluestein_single_fwd_len8192_dim1_sp_op_CI_CI.kd
    .uniform_work_group_size: 1
    .uses_dynamic_stack: false
    .vgpr_count:     128
    .vgpr_spill_count: 26
    .wavefront_size: 64
amdhsa.target:   amdgcn-amd-amdhsa--gfx906
amdhsa.version:
  - 1
  - 2
...

	.end_amdgpu_metadata
